;; amdgpu-corpus repo=ROCm/rocFFT kind=compiled arch=gfx1030 opt=O3
	.text
	.amdgcn_target "amdgcn-amd-amdhsa--gfx1030"
	.amdhsa_code_object_version 6
	.protected	bluestein_single_back_len847_dim1_dp_op_CI_CI ; -- Begin function bluestein_single_back_len847_dim1_dp_op_CI_CI
	.globl	bluestein_single_back_len847_dim1_dp_op_CI_CI
	.p2align	8
	.type	bluestein_single_back_len847_dim1_dp_op_CI_CI,@function
bluestein_single_back_len847_dim1_dp_op_CI_CI: ; @bluestein_single_back_len847_dim1_dp_op_CI_CI
; %bb.0:
	s_load_dwordx4 s[16:19], s[4:5], 0x28
	v_mul_u32_u24_e32 v1, 0x354, v0
	s_mov_b32 s0, exec_lo
	v_lshrrev_b32_e32 v1, 16, v1
	v_mad_u64_u32 v[188:189], null, s6, 3, v[1:2]
	v_mov_b32_e32 v189, 0
	s_waitcnt lgkmcnt(0)
	v_cmpx_gt_u64_e64 s[16:17], v[188:189]
	s_cbranch_execz .LBB0_10
; %bb.1:
	s_clause 0x1
	s_load_dwordx4 s[8:11], s[4:5], 0x18
	s_load_dwordx4 s[12:15], s[4:5], 0x0
	v_mul_lo_u16 v1, 0x4d, v1
	v_mul_hi_u32 v61, 0xaaaaaaab, v188
	s_mov_b32 s28, 0xf8bb580b
	s_mov_b32 s16, 0x43842ef
	;; [unrolled: 1-line block ×3, first 2 shown]
	v_sub_nc_u16 v62, v0, v1
	s_mov_b32 s29, 0xbfe14ced
	s_mov_b32 s7, 0xbfed1bb4
	;; [unrolled: 1-line block ×3, first 2 shown]
	v_lshrrev_b32_e32 v61, 1, v61
	v_and_b32_e32 v205, 0xffff, v62
	s_mov_b32 s25, 0xbfd207e7
	s_mov_b32 s35, 0x3fd207e7
	;; [unrolled: 1-line block ×3, first 2 shown]
	v_lshl_add_u32 v61, v61, 1, v61
	v_lshlrev_b32_e32 v44, 4, v205
	s_mov_b32 s27, 0x3fe14ced
	s_mov_b32 s34, s24
	s_waitcnt lgkmcnt(0)
	s_load_dwordx4 s[20:23], s[8:9], 0x0
	s_clause 0x1
	global_load_dwordx4 v[4:7], v44, s[12:13]
	global_load_dwordx4 v[0:3], v44, s[12:13] offset:1232
	v_add_co_u32 v182, s0, s12, v44
	v_add_co_ci_u32_e64 v183, null, s13, 0, s0
	v_sub_nc_u32_e32 v61, v188, v61
	v_add_co_u32 v156, vcc_lo, 0x3000, v182
	v_add_co_ci_u32_e32 v157, vcc_lo, 0, v183, vcc_lo
	v_add_co_u32 v10, s2, 0x1000, v182
	v_add_co_u32 v16, s3, 0x1800, v182
	;; [unrolled: 1-line block ×4, first 2 shown]
	s_waitcnt lgkmcnt(0)
	v_mad_u64_u32 v[18:19], null, s22, v188, 0
	v_mad_u64_u32 v[30:31], null, s20, v205, 0
	v_add_co_ci_u32_e64 v11, s2, 0, v183, s2
	v_add_co_ci_u32_e64 v17, s2, 0, v183, s3
	v_mov_b32_e32 v12, v19
	v_add_co_ci_u32_e64 v29, s1, 0, v183, s1
	v_mov_b32_e32 v13, v31
	v_add_co_ci_u32_e64 v33, s0, 0, v183, s0
	s_mul_i32 s0, s21, 0x4d0
	s_mul_hi_u32 s1, s20, 0x4d0
	v_mad_u64_u32 v[14:15], null, s23, v188, v[12:13]
	s_mul_i32 s2, s20, 0x4d0
	s_add_i32 s1, s1, s0
	v_add_co_u32 v8, s6, 0x800, v182
	v_add_co_ci_u32_e64 v9, s6, 0, v183, s6
	v_mad_u64_u32 v[34:35], null, s21, v205, v[13:14]
	v_mov_b32_e32 v19, v14
	s_clause 0x4
	global_load_dwordx4 v[40:43], v[8:9], off offset:416
	global_load_dwordx4 v[20:23], v[8:9], off offset:1648
	;; [unrolled: 1-line block ×5, first 2 shown]
	v_mul_u32_u24_e32 v61, 0x34f, v61
	s_mov_b32 s6, 0x8eee2c13
	s_mov_b32 s12, 0x640f44db
	v_mov_b32_e32 v31, v34
	v_lshlrev_b64 v[34:35], 4, v[18:19]
	global_load_dwordx4 v[16:19], v[28:29], off offset:432
	v_lshlrev_b32_e32 v207, 4, v61
	s_mov_b32 s20, 0x7f775887
	v_lshlrev_b64 v[30:31], 4, v[30:31]
	s_mov_b32 s22, 0x9bcd5057
	v_add_co_u32 v34, vcc_lo, s18, v34
	v_add_co_ci_u32_e32 v35, vcc_lo, s19, v35, vcc_lo
	v_add_nc_u32_e32 v206, v44, v207
	v_add_co_u32 v34, vcc_lo, v34, v30
	v_add_co_ci_u32_e32 v35, vcc_lo, v35, v31, vcc_lo
	global_load_dwordx4 v[28:31], v[28:29], off offset:1664
	v_add_co_u32 v36, vcc_lo, v34, s2
	v_add_co_ci_u32_e32 v37, vcc_lo, s1, v35, vcc_lo
	global_load_dwordx4 v[45:48], v[34:35], off
	v_add_co_u32 v38, vcc_lo, v36, s2
	global_load_dwordx4 v[49:52], v[36:37], off
	v_add_co_ci_u32_e32 v39, vcc_lo, s1, v37, vcc_lo
	v_add_co_u32 v34, vcc_lo, v38, s2
	s_mov_b32 s18, 0xbb3a28a1
	v_add_co_ci_u32_e32 v35, vcc_lo, s1, v39, vcc_lo
	v_add_co_u32 v36, vcc_lo, v34, s2
	global_load_dwordx4 v[53:56], v[38:39], off
	v_add_co_ci_u32_e32 v37, vcc_lo, s1, v35, vcc_lo
	v_add_co_u32 v38, vcc_lo, v36, s2
	s_clause 0x1
	global_load_dwordx4 v[57:60], v[34:35], off
	global_load_dwordx4 v[63:66], v[36:37], off
	v_add_co_ci_u32_e32 v39, vcc_lo, s1, v37, vcc_lo
	v_add_co_u32 v34, vcc_lo, v38, s2
	s_mov_b32 s19, 0xbfe82f19
	v_add_co_ci_u32_e32 v35, vcc_lo, s1, v39, vcc_lo
	v_add_co_u32 v36, vcc_lo, v34, s2
	global_load_dwordx4 v[67:70], v[38:39], off
	v_add_co_ci_u32_e32 v37, vcc_lo, s1, v35, vcc_lo
	v_add_co_u32 v38, vcc_lo, v36, s2
	global_load_dwordx4 v[71:74], v[34:35], off
	;; [unrolled: 3-line block ×3, first 2 shown]
	v_add_co_ci_u32_e32 v84, vcc_lo, s1, v39, vcc_lo
	v_add_co_u32 v87, vcc_lo, v83, s2
	s_mov_b32 s2, 0xd9c712b6
	v_add_co_ci_u32_e32 v88, vcc_lo, s1, v84, vcc_lo
	global_load_dwordx4 v[79:82], v[38:39], off
	global_load_dwordx4 v[32:35], v[32:33], off offset:848
	global_load_dwordx4 v[83:86], v[83:84], off
	global_load_dwordx4 v[36:39], v[156:157], off offset:32
	global_load_dwordx4 v[87:90], v[87:88], off
	s_load_dwordx4 s[8:11], s[10:11], 0x0
	s_mov_b32 s0, 0x8764f0ba
	s_mov_b32 s1, 0x3feaeb8c
	;; [unrolled: 1-line block ×8, first 2 shown]
	v_mul_lo_u16 v155, v62, 11
	v_cmp_gt_u16_e32 vcc_lo, 44, v62
	s_waitcnt vmcnt(12)
	v_mul_f64 v[91:92], v[47:48], v[6:7]
	v_mul_f64 v[93:94], v[45:46], v[6:7]
	s_waitcnt vmcnt(11)
	v_mul_f64 v[95:96], v[51:52], v[2:3]
	v_mul_f64 v[97:98], v[49:50], v[2:3]
	;; [unrolled: 3-line block ×5, first 2 shown]
	v_fma_f64 v[45:46], v[45:46], v[4:5], v[91:92]
	v_fma_f64 v[47:48], v[47:48], v[4:5], -v[93:94]
	v_fma_f64 v[49:50], v[49:50], v[0:1], v[95:96]
	v_fma_f64 v[51:52], v[51:52], v[0:1], -v[97:98]
	s_waitcnt vmcnt(7)
	v_mul_f64 v[111:112], v[69:70], v[14:15]
	v_mul_f64 v[113:114], v[67:68], v[14:15]
	s_waitcnt vmcnt(6)
	v_mul_f64 v[115:116], v[73:74], v[10:11]
	v_mul_f64 v[117:118], v[71:72], v[10:11]
	v_fma_f64 v[53:54], v[53:54], v[40:41], v[99:100]
	v_fma_f64 v[55:56], v[55:56], v[40:41], -v[101:102]
	s_waitcnt vmcnt(5)
	v_mul_f64 v[119:120], v[77:78], v[18:19]
	v_mul_f64 v[121:122], v[75:76], v[18:19]
	v_fma_f64 v[57:58], v[57:58], v[20:21], v[103:104]
	v_fma_f64 v[59:60], v[59:60], v[20:21], -v[105:106]
	s_waitcnt vmcnt(4)
	v_mul_f64 v[123:124], v[81:82], v[30:31]
	v_mul_f64 v[125:126], v[79:80], v[30:31]
	s_waitcnt vmcnt(2)
	v_mul_f64 v[127:128], v[85:86], v[34:35]
	v_mul_f64 v[129:130], v[83:84], v[34:35]
	s_waitcnt vmcnt(0)
	v_mul_f64 v[131:132], v[89:90], v[38:39]
	v_mul_f64 v[133:134], v[87:88], v[38:39]
	v_fma_f64 v[63:64], v[63:64], v[24:25], v[107:108]
	v_fma_f64 v[65:66], v[65:66], v[24:25], -v[109:110]
	v_fma_f64 v[67:68], v[67:68], v[12:13], v[111:112]
	v_fma_f64 v[69:70], v[69:70], v[12:13], -v[113:114]
	;; [unrolled: 2-line block ×7, first 2 shown]
	ds_write_b128 v206, v[45:48]
	ds_write_b128 v206, v[49:52] offset:1232
	ds_write_b128 v206, v[53:56] offset:2464
	;; [unrolled: 1-line block ×10, first 2 shown]
	s_waitcnt lgkmcnt(0)
	s_barrier
	buffer_gl0_inv
	ds_read_b128 v[52:55], v206
	ds_read_b128 v[56:59], v206 offset:1232
	ds_read_b128 v[63:66], v206 offset:2464
	;; [unrolled: 1-line block ×6, first 2 shown]
	s_waitcnt lgkmcnt(5)
	v_add_f64 v[44:45], v[52:53], v[56:57]
	v_add_f64 v[46:47], v[54:55], v[58:59]
	s_waitcnt lgkmcnt(2)
	v_add_f64 v[101:102], v[63:64], v[48:49]
	v_add_f64 v[103:104], v[65:66], v[50:51]
	;; [unrolled: 3-line block ×3, first 2 shown]
	v_add_f64 v[60:61], v[44:45], v[63:64]
	v_add_f64 v[75:76], v[46:47], v[65:66]
	ds_read_b128 v[44:47], v206 offset:12320
	v_add_f64 v[63:64], v[63:64], -v[48:49]
	v_add_f64 v[65:66], v[65:66], -v[50:51]
	v_add_f64 v[60:61], v[60:61], v[67:68]
	v_add_f64 v[91:92], v[75:76], v[69:70]
	ds_read_b128 v[75:78], v206 offset:4928
	ds_read_b128 v[83:86], v206 offset:6160
	;; [unrolled: 1-line block ×3, first 2 shown]
	s_waitcnt lgkmcnt(3)
	v_add_f64 v[93:94], v[58:59], -v[46:47]
	v_add_f64 v[95:96], v[56:57], -v[44:45]
	v_add_f64 v[97:98], v[56:57], v[44:45]
	v_add_f64 v[99:100], v[58:59], v[46:47]
	v_add_f64 v[69:70], v[69:70], -v[73:74]
	v_mul_f64 v[133:134], v[65:66], s[6:7]
	v_mul_f64 v[137:138], v[63:64], s[6:7]
	v_add_f64 v[67:68], v[67:68], -v[71:72]
	v_mul_f64 v[135:136], v[65:66], s[18:19]
	v_mul_f64 v[139:140], v[63:64], s[18:19]
	;; [unrolled: 1-line block ×5, first 2 shown]
	s_waitcnt lgkmcnt(0)
	s_barrier
	buffer_gl0_inv
	v_add_f64 v[109:110], v[60:61], v[75:76]
	v_add_f64 v[91:92], v[91:92], v[77:78]
	v_add_f64 v[60:61], v[83:84], v[87:88]
	v_add_f64 v[56:57], v[85:86], v[89:90]
	v_add_f64 v[58:59], v[83:84], -v[87:88]
	v_add_f64 v[115:116], v[85:86], -v[89:90]
	v_mul_f64 v[117:118], v[93:94], s[28:29]
	v_mul_f64 v[119:120], v[95:96], s[28:29]
	;; [unrolled: 1-line block ×10, first 2 shown]
	s_mov_b32 s7, 0x3fed1bb4
	v_add_f64 v[111:112], v[75:76], v[79:80]
	v_add_f64 v[113:114], v[77:78], v[81:82]
	v_add_f64 v[75:76], v[75:76], -v[79:80]
	v_add_f64 v[77:78], v[77:78], -v[81:82]
	v_mul_f64 v[145:146], v[69:70], s[16:17]
	v_add_f64 v[83:84], v[109:110], v[83:84]
	v_add_f64 v[85:86], v[91:92], v[85:86]
	v_mul_f64 v[91:92], v[65:66], s[34:35]
	v_mul_f64 v[109:110], v[65:66], s[30:31]
	;; [unrolled: 1-line block ×7, first 2 shown]
	v_fma_f64 v[153:154], v[97:98], s[0:1], -v[117:118]
	v_fma_f64 v[158:159], v[99:100], s[0:1], v[119:120]
	v_fma_f64 v[117:118], v[97:98], s[0:1], v[117:118]
	v_fma_f64 v[119:120], v[99:100], s[0:1], -v[119:120]
	v_fma_f64 v[160:161], v[97:98], s[2:3], -v[121:122]
	v_fma_f64 v[162:163], v[99:100], s[2:3], v[123:124]
	v_fma_f64 v[164:165], v[97:98], s[20:21], -v[129:130]
	v_fma_f64 v[166:167], v[99:100], s[20:21], v[131:132]
	v_fma_f64 v[129:130], v[97:98], s[20:21], v[129:130]
	v_fma_f64 v[131:132], v[99:100], s[20:21], -v[131:132]
	v_fma_f64 v[168:169], v[97:98], s[22:23], -v[93:94]
	v_fma_f64 v[93:94], v[97:98], s[22:23], v[93:94]
	v_fma_f64 v[170:171], v[101:102], s[20:21], -v[135:136]
	v_add_f64 v[83:84], v[83:84], v[87:88]
	v_add_f64 v[85:86], v[85:86], v[89:90]
	v_fma_f64 v[87:88], v[97:98], s[2:3], v[121:122]
	v_fma_f64 v[89:90], v[99:100], s[2:3], -v[123:124]
	v_fma_f64 v[121:122], v[97:98], s[12:13], -v[125:126]
	v_fma_f64 v[123:124], v[99:100], s[12:13], v[127:128]
	v_fma_f64 v[125:126], v[97:98], s[12:13], v[125:126]
	v_fma_f64 v[127:128], v[99:100], s[12:13], -v[127:128]
	v_fma_f64 v[97:98], v[99:100], s[22:23], v[95:96]
	v_fma_f64 v[95:96], v[99:100], s[22:23], -v[95:96]
	v_fma_f64 v[99:100], v[101:102], s[2:3], -v[133:134]
	v_fma_f64 v[133:134], v[101:102], s[2:3], v[133:134]
	v_fma_f64 v[135:136], v[101:102], s[20:21], v[135:136]
	v_fma_f64 v[172:173], v[101:102], s[22:23], -v[91:92]
	v_fma_f64 v[91:92], v[101:102], s[22:23], v[91:92]
	v_add_f64 v[153:154], v[52:53], v[153:154]
	v_add_f64 v[158:159], v[54:55], v[158:159]
	;; [unrolled: 1-line block ×9, first 2 shown]
	v_fma_f64 v[83:84], v[101:102], s[12:13], -v[109:110]
	v_fma_f64 v[85:86], v[101:102], s[12:13], v[109:110]
	v_fma_f64 v[109:110], v[101:102], s[0:1], -v[65:66]
	v_fma_f64 v[65:66], v[101:102], s[0:1], v[65:66]
	v_fma_f64 v[101:102], v[103:104], s[2:3], v[137:138]
	v_fma_f64 v[137:138], v[103:104], s[2:3], -v[137:138]
	v_add_f64 v[87:88], v[52:53], v[87:88]
	v_add_f64 v[89:90], v[54:55], v[89:90]
	;; [unrolled: 1-line block ×13, first 2 shown]
	v_fma_f64 v[174:175], v[103:104], s[20:21], v[139:140]
	v_fma_f64 v[139:140], v[103:104], s[20:21], -v[139:140]
	v_fma_f64 v[176:177], v[103:104], s[22:23], v[141:142]
	v_fma_f64 v[141:142], v[103:104], s[22:23], -v[141:142]
	v_add_f64 v[52:53], v[79:80], v[71:72]
	v_add_f64 v[54:55], v[81:82], v[73:74]
	v_fma_f64 v[71:72], v[103:104], s[12:13], v[143:144]
	v_fma_f64 v[73:74], v[103:104], s[12:13], -v[143:144]
	v_fma_f64 v[79:80], v[103:104], s[0:1], v[63:64]
	v_fma_f64 v[63:64], v[103:104], s[0:1], -v[63:64]
	v_fma_f64 v[81:82], v[105:106], s[12:13], -v[145:146]
	v_fma_f64 v[103:104], v[105:106], s[12:13], v[145:146]
	v_fma_f64 v[143:144], v[105:106], s[22:23], -v[147:148]
	v_fma_f64 v[145:146], v[105:106], s[22:23], v[147:148]
	v_fma_f64 v[147:148], v[105:106], s[0:1], -v[149:150]
	v_fma_f64 v[149:150], v[105:106], s[0:1], v[149:150]
	v_fma_f64 v[178:179], v[105:106], s[20:21], -v[151:152]
	v_fma_f64 v[151:152], v[105:106], s[20:21], v[151:152]
	v_fma_f64 v[180:181], v[105:106], s[2:3], -v[69:70]
	v_fma_f64 v[69:70], v[105:106], s[2:3], v[69:70]
	v_mul_f64 v[105:106], v[67:68], s[16:17]
	v_mul_f64 v[184:185], v[67:68], s[34:35]
	;; [unrolled: 1-line block ×11, first 2 shown]
	v_add_f64 v[99:100], v[99:100], v[153:154]
	v_add_f64 v[101:102], v[101:102], v[158:159]
	;; [unrolled: 1-line block ×7, first 2 shown]
	v_mul_f64 v[127:128], v[115:116], s[24:25]
	v_mul_f64 v[129:130], v[115:116], s[26:27]
	v_mul_f64 v[131:132], v[115:116], s[18:19]
	v_mul_f64 v[135:136], v[115:116], s[16:17]
	v_fma_f64 v[191:192], v[107:108], s[12:13], v[105:106]
	v_fma_f64 v[105:106], v[107:108], s[12:13], -v[105:106]
	v_fma_f64 v[193:194], v[107:108], s[22:23], v[184:185]
	v_fma_f64 v[184:185], v[107:108], s[22:23], -v[184:185]
	;; [unrolled: 2-line block ×5, first 2 shown]
	v_mul_f64 v[107:108], v[77:78], s[18:19]
	v_mul_f64 v[77:78], v[77:78], s[6:7]
	v_fma_f64 v[212:213], v[111:112], s[12:13], -v[201:202]
	v_fma_f64 v[201:202], v[111:112], s[12:13], v[201:202]
	v_fma_f64 v[214:215], v[111:112], s[0:1], -v[203:204]
	v_fma_f64 v[203:204], v[111:112], s[0:1], v[203:204]
	v_fma_f64 v[216:217], v[111:112], s[22:23], -v[208:209]
	v_fma_f64 v[208:209], v[111:112], s[22:23], v[208:209]
	v_fma_f64 v[228:229], v[113:114], s[12:13], v[220:221]
	v_fma_f64 v[220:221], v[113:114], s[12:13], -v[220:221]
	v_fma_f64 v[230:231], v[113:114], s[0:1], v[222:223]
	v_fma_f64 v[222:223], v[113:114], s[0:1], -v[222:223]
	;; [unrolled: 2-line block ×3, first 2 shown]
	v_mul_f64 v[115:116], v[115:116], s[6:7]
	v_add_f64 v[121:122], v[172:173], v[121:122]
	v_add_f64 v[123:124], v[176:177], v[123:124]
	v_add_f64 v[83:84], v[83:84], v[164:165]
	v_add_f64 v[71:72], v[71:72], v[166:167]
	v_add_f64 v[109:110], v[109:110], v[168:169]
	v_add_f64 v[79:80], v[79:80], v[97:98]
	v_add_f64 v[65:66], v[65:66], v[93:94]
	v_fma_f64 v[210:211], v[111:112], s[20:21], -v[107:108]
	v_fma_f64 v[107:108], v[111:112], s[20:21], v[107:108]
	v_fma_f64 v[218:219], v[111:112], s[2:3], -v[77:78]
	v_fma_f64 v[77:78], v[111:112], s[2:3], v[77:78]
	v_mul_f64 v[111:112], v[75:76], s[18:19]
	v_mul_f64 v[75:76], v[75:76], s[6:7]
	v_add_f64 v[63:64], v[63:64], v[95:96]
	v_add_f64 v[89:90], v[139:140], v[89:90]
	v_fma_f64 v[139:140], v[60:61], s[0:1], -v[129:130]
	v_fma_f64 v[129:130], v[60:61], s[0:1], v[129:130]
	v_fma_f64 v[141:142], v[60:61], s[20:21], -v[131:132]
	v_fma_f64 v[131:132], v[60:61], s[20:21], v[131:132]
	;; [unrolled: 2-line block ×3, first 2 shown]
	v_fma_f64 v[158:159], v[60:61], s[2:3], -v[115:116]
	v_add_f64 v[81:82], v[81:82], v[99:100]
	v_add_f64 v[93:94], v[191:192], v[101:102]
	;; [unrolled: 1-line block ×3, first 2 shown]
	v_mul_f64 v[91:92], v[58:59], s[24:25]
	v_add_f64 v[83:84], v[147:148], v[83:84]
	v_add_f64 v[71:72], v[195:196], v[71:72]
	v_add_f64 v[109:110], v[178:179], v[109:110]
	v_add_f64 v[79:80], v[197:198], v[79:80]
	v_add_f64 v[65:66], v[151:152], v[65:66]
	v_add_f64 v[85:86], v[149:150], v[85:86]
	v_add_f64 v[73:74], v[186:187], v[73:74]
	v_fma_f64 v[226:227], v[113:114], s[20:21], v[111:112]
	v_fma_f64 v[111:112], v[113:114], s[20:21], -v[111:112]
	v_fma_f64 v[234:235], v[113:114], s[2:3], v[75:76]
	v_fma_f64 v[75:76], v[113:114], s[2:3], -v[75:76]
	v_add_f64 v[113:114], v[133:134], v[117:118]
	v_add_f64 v[117:118], v[137:138], v[119:120]
	;; [unrolled: 1-line block ×4, first 2 shown]
	v_fma_f64 v[137:138], v[60:61], s[22:23], -v[127:128]
	v_fma_f64 v[127:128], v[60:61], s[22:23], v[127:128]
	v_fma_f64 v[60:61], v[60:61], s[2:3], v[115:116]
	v_mul_f64 v[115:116], v[58:59], s[18:19]
	v_add_f64 v[63:64], v[189:190], v[63:64]
	v_add_f64 v[67:68], v[67:68], v[125:126]
	v_add_f64 v[87:88], v[145:146], v[87:88]
	v_add_f64 v[89:90], v[184:185], v[89:90]
	v_add_f64 v[71:72], v[232:233], v[71:72]
	v_add_f64 v[109:110], v[218:219], v[109:110]
	v_add_f64 v[69:70], v[203:204], v[69:70]
	v_add_f64 v[160:161], v[52:53], v[48:49]
	v_add_f64 v[162:163], v[54:55], v[50:51]
	v_add_f64 v[147:148], v[224:225], v[73:74]
	v_add_f64 v[95:96], v[103:104], v[113:114]
	v_add_f64 v[97:98], v[105:106], v[117:118]
	v_mul_f64 v[113:114], v[58:59], s[26:27]
	v_mul_f64 v[117:118], v[58:59], s[16:17]
	v_mul_f64 v[58:59], v[58:59], s[6:7]
	v_add_f64 v[99:100], v[143:144], v[119:120]
	v_add_f64 v[101:102], v[193:194], v[133:134]
	;; [unrolled: 1-line block ×4, first 2 shown]
	v_fma_f64 v[119:120], v[56:57], s[22:23], v[91:92]
	v_fma_f64 v[91:92], v[56:57], s[22:23], -v[91:92]
	v_fma_f64 v[123:124], v[56:57], s[20:21], v[115:116]
	v_fma_f64 v[115:116], v[56:57], s[20:21], -v[115:116]
	v_add_f64 v[145:146], v[75:76], v[63:64]
	v_add_f64 v[149:150], v[222:223], v[67:68]
	;; [unrolled: 1-line block ×5, first 2 shown]
	v_fma_f64 v[121:122], v[56:57], s[0:1], v[113:114]
	v_fma_f64 v[113:114], v[56:57], s[0:1], -v[113:114]
	v_fma_f64 v[125:126], v[56:57], s[12:13], v[117:118]
	v_fma_f64 v[117:118], v[56:57], s[12:13], -v[117:118]
	;; [unrolled: 2-line block ×3, first 2 shown]
	v_add_f64 v[56:57], v[210:211], v[81:82]
	v_add_f64 v[58:59], v[226:227], v[93:94]
	;; [unrolled: 1-line block ×14, first 2 shown]
	s_load_dwordx2 s[2:3], s[4:5], 0x38
	v_add_f64 v[65:66], v[133:134], v[71:72]
	v_add_f64 v[72:73], v[153:154], v[109:110]
	;; [unrolled: 1-line block ×19, first 2 shown]
	v_and_b32_e32 v60, 0xffff, v155
                                        ; implicit-def: $vgpr136_vgpr137
                                        ; implicit-def: $vgpr140_vgpr141
                                        ; implicit-def: $vgpr144_vgpr145
	v_lshl_add_u32 v210, v60, 4, v207
	ds_write_b128 v210, v[48:51] offset:16
	ds_write_b128 v210, v[52:55] offset:32
	;; [unrolled: 1-line block ×10, first 2 shown]
	ds_write_b128 v210, v[44:47]
	s_waitcnt lgkmcnt(0)
	s_barrier
	buffer_gl0_inv
	ds_read_b128 v[72:75], v206
	ds_read_b128 v[128:131], v206 offset:1936
	ds_read_b128 v[124:127], v206 offset:3872
	;; [unrolled: 1-line block ×6, first 2 shown]
	s_and_saveexec_b32 s0, vcc_lo
	s_cbranch_execz .LBB0_3
; %bb.2:
	ds_read_b128 v[68:71], v206 offset:1232
	ds_read_b128 v[76:79], v206 offset:3168
	;; [unrolled: 1-line block ×7, first 2 shown]
.LBB0_3:
	s_or_b32 exec_lo, exec_lo, s0
	v_and_b32_e32 v44, 0xff, v205
	v_add_nc_u16 v45, v205, 0x4d
	s_mov_b32 s12, 0x37e14327
	s_mov_b32 s0, 0x36b3c0b5
	;; [unrolled: 1-line block ×3, first 2 shown]
	v_mul_lo_u16 v44, 0x75, v44
	v_and_b32_e32 v46, 0xff, v45
	s_mov_b32 s4, 0x429ad128
	s_mov_b32 s13, 0x3fe948f6
	;; [unrolled: 1-line block ×3, first 2 shown]
	v_lshrrev_b16 v44, 8, v44
	v_mul_lo_u16 v46, 0x75, v46
	s_mov_b32 s23, 0xbfe11646
	s_mov_b32 s5, 0x3febfeb5
	;; [unrolled: 1-line block ×3, first 2 shown]
	v_sub_nc_u16 v47, v205, v44
	v_lshrrev_b16 v46, 8, v46
	s_mov_b32 s20, 0x5476071b
	s_mov_b32 s24, 0xb247c609
	;; [unrolled: 1-line block ×3, first 2 shown]
	v_lshrrev_b16 v47, 1, v47
	v_sub_nc_u16 v48, v45, v46
	s_mov_b32 s21, 0x3fe77f67
	s_mov_b32 s17, 0xbfe77f67
	;; [unrolled: 1-line block ×3, first 2 shown]
	v_and_b32_e32 v47, 0x7f, v47
	s_mov_b32 s27, 0xbfd5d0dc
	s_mov_b32 s16, s20
	;; [unrolled: 1-line block ×4, first 2 shown]
	v_add_nc_u16 v44, v47, v44
	v_lshrrev_b16 v47, 1, v48
	s_mov_b32 s19, 0x3fdc38aa
	v_lshrrev_b16 v201, 3, v44
	v_and_b32_e32 v44, 0x7f, v47
	v_mul_lo_u16 v47, v201, 11
	v_add_nc_u16 v44, v44, v46
	v_mov_b32_e32 v46, 6
	v_sub_nc_u16 v202, v205, v47
	v_lshrrev_b16 v208, 3, v44
	v_mul_u32_u24_sdwa v44, v202, v46 dst_sel:DWORD dst_unused:UNUSED_PAD src0_sel:BYTE_0 src1_sel:DWORD
	v_mul_lo_u16 v47, v208, 11
	v_lshlrev_b32_e32 v44, 4, v44
	v_sub_nc_u16 v209, v45, v47
	s_clause 0x1
	global_load_dwordx4 v[112:115], v44, s[14:15]
	global_load_dwordx4 v[108:111], v44, s[14:15] offset:16
	v_mul_u32_u24_sdwa v45, v209, v46 dst_sel:DWORD dst_unused:UNUSED_PAD src0_sel:BYTE_0 src1_sel:DWORD
	s_clause 0x1
	global_load_dwordx4 v[100:103], v44, s[14:15] offset:32
	global_load_dwordx4 v[116:119], v44, s[14:15] offset:80
	v_lshlrev_b32_e32 v64, 4, v45
	s_clause 0x7
	global_load_dwordx4 v[120:123], v44, s[14:15] offset:64
	global_load_dwordx4 v[104:107], v44, s[14:15] offset:48
	global_load_dwordx4 v[52:55], v64, s[14:15]
	global_load_dwordx4 v[48:51], v64, s[14:15] offset:16
	global_load_dwordx4 v[44:47], v64, s[14:15] offset:32
	;; [unrolled: 1-line block ×5, first 2 shown]
	s_waitcnt vmcnt(0) lgkmcnt(0)
	s_barrier
	buffer_gl0_inv
	v_mul_f64 v[148:149], v[130:131], v[114:115]
	v_mul_f64 v[150:151], v[128:129], v[114:115]
	;; [unrolled: 1-line block ×24, first 2 shown]
	v_fma_f64 v[128:129], v[128:129], v[112:113], -v[148:149]
	v_fma_f64 v[130:131], v[130:131], v[112:113], v[150:151]
	v_fma_f64 v[124:125], v[124:125], v[108:109], -v[152:153]
	v_fma_f64 v[126:127], v[126:127], v[108:109], v[154:155]
	;; [unrolled: 2-line block ×12, first 2 shown]
	v_add_f64 v[148:149], v[128:129], v[132:133]
	v_add_f64 v[150:151], v[130:131], v[134:135]
	;; [unrolled: 1-line block ×4, first 2 shown]
	v_add_f64 v[128:129], v[128:129], -v[132:133]
	v_add_f64 v[130:131], v[130:131], -v[134:135]
	v_add_f64 v[132:133], v[92:93], v[88:89]
	v_add_f64 v[134:135], v[94:95], v[90:91]
	v_add_f64 v[96:97], v[124:125], -v[96:97]
	v_add_f64 v[98:99], v[126:127], -v[98:99]
	;; [unrolled: 1-line block ×4, first 2 shown]
	v_add_f64 v[92:93], v[76:77], v[144:145]
	v_add_f64 v[94:95], v[78:79], v[146:147]
	v_add_f64 v[124:125], v[80:81], v[140:141]
	v_add_f64 v[126:127], v[82:83], v[142:143]
	v_add_f64 v[76:77], v[76:77], -v[144:145]
	v_add_f64 v[78:79], v[78:79], -v[146:147]
	;; [unrolled: 1-line block ×4, first 2 shown]
	v_add_f64 v[140:141], v[84:85], v[136:137]
	v_add_f64 v[142:143], v[86:87], v[138:139]
	v_add_f64 v[84:85], v[136:137], -v[84:85]
	v_add_f64 v[86:87], v[138:139], -v[86:87]
	v_add_f64 v[136:137], v[152:153], v[148:149]
	v_add_f64 v[138:139], v[154:155], v[150:151]
	v_add_f64 v[144:145], v[152:153], -v[148:149]
	v_add_f64 v[146:147], v[154:155], -v[150:151]
	;; [unrolled: 1-line block ×6, first 2 shown]
	v_add_f64 v[158:159], v[88:89], v[96:97]
	v_add_f64 v[160:161], v[90:91], v[98:99]
	v_add_f64 v[162:163], v[88:89], -v[96:97]
	v_add_f64 v[164:165], v[90:91], -v[98:99]
	v_add_f64 v[166:167], v[124:125], v[92:93]
	v_add_f64 v[168:169], v[126:127], v[94:95]
	v_add_f64 v[96:97], v[96:97], -v[128:129]
	v_add_f64 v[98:99], v[98:99], -v[130:131]
	;; [unrolled: 1-line block ×8, first 2 shown]
	v_add_f64 v[124:125], v[84:85], v[80:81]
	v_add_f64 v[126:127], v[86:87], v[82:83]
	v_add_f64 v[178:179], v[84:85], -v[80:81]
	v_add_f64 v[180:181], v[86:87], -v[82:83]
	v_add_f64 v[132:133], v[132:133], v[136:137]
	v_add_f64 v[134:135], v[134:135], v[138:139]
	v_add_f64 v[80:81], v[80:81], -v[76:77]
	v_add_f64 v[82:83], v[82:83], -v[78:79]
	;; [unrolled: 1-line block ×6, first 2 shown]
	v_add_f64 v[140:141], v[140:141], v[166:167]
	v_add_f64 v[142:143], v[142:143], v[168:169]
	;; [unrolled: 1-line block ×4, first 2 shown]
	v_mul_f64 v[136:137], v[148:149], s[12:13]
	v_mul_f64 v[138:139], v[150:151], s[12:13]
	;; [unrolled: 1-line block ×8, first 2 shown]
	v_add_f64 v[166:167], v[124:125], v[76:77]
	v_add_f64 v[78:79], v[126:127], v[78:79]
	v_mul_f64 v[76:77], v[92:93], s[12:13]
	v_mul_f64 v[92:93], v[94:95], s[12:13]
	v_add_f64 v[124:125], v[72:73], v[132:133]
	v_add_f64 v[126:127], v[74:75], v[134:135]
	v_mul_f64 v[72:73], v[174:175], s[0:1]
	v_mul_f64 v[74:75], v[176:177], s[0:1]
	v_mul_f64 v[94:95], v[178:179], s[22:23]
	v_mul_f64 v[168:169], v[180:181], s[22:23]
	v_mul_f64 v[178:179], v[80:81], s[4:5]
	v_mul_f64 v[180:181], v[82:83], s[4:5]
	v_add_f64 v[68:69], v[68:69], v[140:141]
	v_add_f64 v[70:71], v[70:71], v[142:143]
	v_fma_f64 v[152:153], v[152:153], s[0:1], v[136:137]
	v_fma_f64 v[154:155], v[154:155], s[0:1], v[138:139]
	v_fma_f64 v[148:149], v[144:145], s[20:21], -v[148:149]
	v_fma_f64 v[150:151], v[146:147], s[20:21], -v[150:151]
	;; [unrolled: 1-line block ×4, first 2 shown]
	v_fma_f64 v[144:145], v[88:89], s[24:25], v[158:159]
	v_fma_f64 v[146:147], v[90:91], s[24:25], v[160:161]
	v_fma_f64 v[96:97], v[96:97], s[4:5], -v[158:159]
	v_fma_f64 v[98:99], v[98:99], s[4:5], -v[160:161]
	;; [unrolled: 1-line block ×4, first 2 shown]
	v_fma_f64 v[132:133], v[132:133], s[6:7], v[124:125]
	v_fma_f64 v[134:135], v[134:135], s[6:7], v[126:127]
	;; [unrolled: 1-line block ×4, first 2 shown]
	v_fma_f64 v[162:163], v[170:171], s[20:21], -v[72:73]
	v_fma_f64 v[164:165], v[172:173], s[20:21], -v[74:75]
	v_fma_f64 v[72:73], v[84:85], s[24:25], v[94:95]
	v_fma_f64 v[74:75], v[86:87], s[24:25], v[168:169]
	v_fma_f64 v[80:81], v[80:81], s[4:5], -v[94:95]
	v_fma_f64 v[82:83], v[82:83], s[4:5], -v[168:169]
	;; [unrolled: 1-line block ×4, first 2 shown]
	v_fma_f64 v[140:141], v[140:141], s[6:7], v[68:69]
	v_fma_f64 v[142:143], v[142:143], s[6:7], v[70:71]
	v_fma_f64 v[168:169], v[170:171], s[16:17], -v[76:77]
	v_fma_f64 v[92:93], v[172:173], s[16:17], -v[92:93]
	v_fma_f64 v[170:171], v[128:129], s[18:19], v[144:145]
	v_fma_f64 v[172:173], v[130:131], s[18:19], v[146:147]
	;; [unrolled: 1-line block ×6, first 2 shown]
	v_add_f64 v[180:181], v[152:153], v[132:133]
	v_add_f64 v[184:185], v[154:155], v[134:135]
	;; [unrolled: 1-line block ×6, first 2 shown]
	v_fma_f64 v[76:77], v[166:167], s[18:19], v[72:73]
	v_fma_f64 v[72:73], v[78:79], s[18:19], v[74:75]
	v_fma_f64 v[90:91], v[166:167], s[18:19], v[80:81]
	v_fma_f64 v[74:75], v[78:79], s[18:19], v[82:83]
	v_fma_f64 v[86:87], v[166:167], s[18:19], v[84:85]
	v_fma_f64 v[80:81], v[78:79], s[18:19], v[94:95]
	v_add_f64 v[78:79], v[162:163], v[140:141]
	v_add_f64 v[94:95], v[164:165], v[142:143]
	;; [unrolled: 1-line block ×6, first 2 shown]
	v_mov_b32_e32 v96, 0x4d
	v_add_f64 v[128:129], v[172:173], v[180:181]
	v_add_f64 v[130:131], v[184:185], -v[170:171]
	v_add_f64 v[144:145], v[178:179], v[136:137]
	v_add_f64 v[146:147], v[138:139], -v[176:177]
	v_add_f64 v[148:149], v[132:133], -v[97:98]
	v_add_f64 v[150:151], v[174:175], v[134:135]
	v_add_f64 v[152:153], v[97:98], v[132:133]
	v_add_f64 v[154:155], v[134:135], -v[174:175]
	v_add_f64 v[158:159], v[136:137], -v[178:179]
	v_add_f64 v[160:161], v[176:177], v[138:139]
	v_add_f64 v[162:163], v[180:181], -v[172:173]
	v_add_f64 v[164:165], v[170:171], v[184:185]
	v_add_f64 v[132:133], v[74:75], v[78:79]
	v_add_f64 v[134:135], v[94:95], -v[90:91]
	v_add_f64 v[136:137], v[82:83], -v[80:81]
	v_add_f64 v[138:139], v[86:87], v[92:93]
	v_add_f64 v[140:141], v[84:85], -v[72:73]
	v_add_f64 v[142:143], v[76:77], v[88:89]
	v_mul_u32_u24_sdwa v97, v201, v96 dst_sel:DWORD dst_unused:UNUSED_PAD src0_sel:WORD_0 src1_sel:DWORD
	v_add_nc_u32_sdwa v97, v97, v202 dst_sel:DWORD dst_unused:UNUSED_PAD src0_sel:DWORD src1_sel:BYTE_0
	v_lshl_add_u32 v211, v97, 4, v207
	ds_write_b128 v211, v[124:127]
	ds_write_b128 v211, v[128:131] offset:176
	ds_write_b128 v211, v[144:147] offset:352
	ds_write_b128 v211, v[148:151] offset:528
	ds_write_b128 v211, v[152:155] offset:704
	ds_write_b128 v211, v[158:161] offset:880
	ds_write_b128 v211, v[162:165] offset:1056
	s_and_saveexec_b32 s0, vcc_lo
	s_cbranch_execz .LBB0_5
; %bb.4:
	v_add_f64 v[90:91], v[90:91], v[94:95]
	v_add_f64 v[86:87], v[92:93], -v[86:87]
	v_add_f64 v[94:95], v[88:89], -v[76:77]
	v_add_f64 v[92:93], v[72:73], v[84:85]
	v_add_f64 v[84:85], v[80:81], v[82:83]
	v_add_f64 v[88:89], v[78:79], -v[74:75]
	v_mul_u32_u24_sdwa v72, v208, v96 dst_sel:DWORD dst_unused:UNUSED_PAD src0_sel:WORD_0 src1_sel:DWORD
	v_add_nc_u32_sdwa v72, v72, v209 dst_sel:DWORD dst_unused:UNUSED_PAD src0_sel:DWORD src1_sel:BYTE_0
	v_lshl_add_u32 v72, v72, 4, v207
	ds_write_b128 v72, v[68:71]
	ds_write_b128 v72, v[132:135] offset:704
	ds_write_b128 v72, v[136:139] offset:880
	;; [unrolled: 1-line block ×6, first 2 shown]
.LBB0_5:
	s_or_b32 exec_lo, exec_lo, s0
	v_mad_u64_u32 v[197:198], null, 0xa0, v205, s[14:15]
	s_waitcnt lgkmcnt(0)
	s_barrier
	buffer_gl0_inv
	ds_read_b128 v[148:151], v206
	ds_read_b128 v[80:83], v206 offset:1232
	ds_read_b128 v[84:87], v206 offset:2464
	;; [unrolled: 1-line block ×10, first 2 shown]
	s_mov_b32 s20, 0xf8bb580b
	s_mov_b32 s14, 0x8eee2c13
	s_clause 0x3
	global_load_dwordx4 v[68:71], v[197:198], off offset:1104
	global_load_dwordx4 v[72:75], v[197:198], off offset:1088
	;; [unrolled: 1-line block ×4, first 2 shown]
	s_mov_b32 s4, 0x43842ef
	s_mov_b32 s22, 0xbb3a28a1
	;; [unrolled: 1-line block ×27, first 2 shown]
	s_waitcnt vmcnt(0) lgkmcnt(9)
	v_mul_f64 v[152:153], v[82:83], v[94:95]
	v_fma_f64 v[199:200], v[80:81], v[92:93], -v[152:153]
	v_mul_f64 v[80:81], v[80:81], v[94:95]
	v_fma_f64 v[201:202], v[82:83], v[92:93], v[80:81]
	s_waitcnt lgkmcnt(8)
	v_mul_f64 v[80:81], v[86:87], v[78:79]
	v_fma_f64 v[178:179], v[84:85], v[76:77], -v[80:81]
	v_mul_f64 v[80:81], v[84:85], v[78:79]
	v_fma_f64 v[176:177], v[86:87], v[76:77], v[80:81]
	s_waitcnt lgkmcnt(7)
	;; [unrolled: 5-line block ×3, first 2 shown]
	v_mul_f64 v[80:81], v[98:99], v[70:71]
	v_fma_f64 v[166:167], v[96:97], v[68:69], -v[80:81]
	v_mul_f64 v[80:81], v[96:97], v[70:71]
	v_fma_f64 v[158:159], v[98:99], v[68:69], v[80:81]
	s_clause 0x3
	global_load_dwordx4 v[88:91], v[197:198], off offset:1168
	global_load_dwordx4 v[84:87], v[197:198], off offset:1152
	;; [unrolled: 1-line block ×4, first 2 shown]
	s_waitcnt vmcnt(0) lgkmcnt(5)
	v_mul_f64 v[152:153], v[126:127], v[98:99]
	v_fma_f64 v[160:161], v[124:125], v[96:97], -v[152:153]
	v_mul_f64 v[124:125], v[124:125], v[98:99]
	v_fma_f64 v[152:153], v[126:127], v[96:97], v[124:125]
	s_waitcnt lgkmcnt(4)
	v_mul_f64 v[124:125], v[130:131], v[82:83]
	v_fma_f64 v[162:163], v[128:129], v[80:81], -v[124:125]
	v_mul_f64 v[124:125], v[128:129], v[82:83]
	v_fma_f64 v[154:155], v[130:131], v[80:81], v[124:125]
	s_waitcnt lgkmcnt(3)
	;; [unrolled: 5-line block ×3, first 2 shown]
	v_mul_f64 v[124:125], v[186:187], v[90:91]
	v_add_f64 v[146:147], v[150:151], v[201:202]
	v_fma_f64 v[180:181], v[184:185], v[88:89], -v[124:125]
	v_mul_f64 v[124:125], v[184:185], v[90:91]
	v_add_f64 v[146:147], v[146:147], v[176:177]
	v_fma_f64 v[172:173], v[186:187], v[88:89], v[124:125]
	s_clause 0x1
	global_load_dwordx4 v[124:127], v[197:198], off offset:1200
	global_load_dwordx4 v[128:131], v[197:198], off offset:1184
	v_add_f64 v[146:147], v[146:147], v[168:169]
	v_add_f64 v[146:147], v[146:147], v[158:159]
	;; [unrolled: 1-line block ×6, first 2 shown]
	s_waitcnt vmcnt(0) lgkmcnt(1)
	v_mul_f64 v[144:145], v[191:192], v[130:131]
	v_fma_f64 v[184:185], v[189:190], v[128:129], -v[144:145]
	v_mul_f64 v[144:145], v[189:190], v[130:131]
	v_fma_f64 v[186:187], v[191:192], v[128:129], v[144:145]
	s_waitcnt lgkmcnt(0)
	v_mul_f64 v[144:145], v[195:196], v[126:127]
	v_add_f64 v[146:147], v[146:147], v[186:187]
	v_fma_f64 v[189:190], v[193:194], v[124:125], -v[144:145]
	v_mul_f64 v[144:145], v[193:194], v[126:127]
	v_add_f64 v[193:194], v[199:200], v[189:190]
	v_fma_f64 v[191:192], v[195:196], v[124:125], v[144:145]
	v_add_f64 v[144:145], v[148:149], v[199:200]
	v_add_f64 v[146:147], v[146:147], v[191:192]
	;; [unrolled: 1-line block ×4, first 2 shown]
	v_add_f64 v[191:192], v[201:202], -v[191:192]
	v_add_f64 v[144:145], v[144:145], v[174:175]
	v_mul_f64 v[197:198], v[191:192], s[20:21]
	v_mul_f64 v[212:213], v[191:192], s[14:15]
	;; [unrolled: 1-line block ×5, first 2 shown]
	v_add_f64 v[144:145], v[144:145], v[166:167]
	v_fma_f64 v[214:215], v[193:194], s[12:13], -v[212:213]
	v_fma_f64 v[212:213], v[193:194], s[12:13], v[212:213]
	v_fma_f64 v[222:223], v[193:194], s[6:7], -v[220:221]
	v_fma_f64 v[220:221], v[193:194], s[6:7], v[220:221]
	;; [unrolled: 2-line block ×4, first 2 shown]
	v_add_f64 v[144:145], v[144:145], v[160:161]
	v_add_f64 v[214:215], v[148:149], v[214:215]
	;; [unrolled: 1-line block ×13, first 2 shown]
	v_add_f64 v[189:190], v[199:200], -v[189:190]
	v_fma_f64 v[199:200], v[193:194], s[16:17], -v[197:198]
	v_fma_f64 v[197:198], v[193:194], s[16:17], v[197:198]
	v_mul_f64 v[201:202], v[189:190], s[20:21]
	v_mul_f64 v[216:217], v[189:190], s[14:15]
	;; [unrolled: 1-line block ×5, first 2 shown]
	v_add_f64 v[199:200], v[148:149], v[199:200]
	v_add_f64 v[197:198], v[148:149], v[197:198]
	v_add_f64 v[148:149], v[148:149], v[191:192]
	v_add_f64 v[191:192], v[176:177], v[186:187]
	v_add_f64 v[176:177], v[176:177], -v[186:187]
	v_fma_f64 v[203:204], v[195:196], s[16:17], v[201:202]
	v_fma_f64 v[201:202], v[195:196], s[16:17], -v[201:202]
	v_fma_f64 v[218:219], v[195:196], s[12:13], v[216:217]
	v_fma_f64 v[216:217], v[195:196], s[12:13], -v[216:217]
	;; [unrolled: 2-line block ×5, first 2 shown]
	v_add_f64 v[203:204], v[150:151], v[203:204]
	v_add_f64 v[201:202], v[150:151], v[201:202]
	;; [unrolled: 1-line block ×11, first 2 shown]
	v_add_f64 v[178:179], v[178:179], -v[184:185]
	v_mul_f64 v[184:185], v[176:177], s[14:15]
	v_mul_f64 v[193:194], v[178:179], s[14:15]
	v_fma_f64 v[186:187], v[189:190], s[12:13], -v[184:185]
	v_fma_f64 v[184:185], v[189:190], s[12:13], v[184:185]
	v_fma_f64 v[195:196], v[191:192], s[12:13], v[193:194]
	v_add_f64 v[186:187], v[186:187], v[199:200]
	v_add_f64 v[184:185], v[184:185], v[197:198]
	v_mul_f64 v[197:198], v[176:177], s[22:23]
	v_fma_f64 v[193:194], v[191:192], s[12:13], -v[193:194]
	v_add_f64 v[195:196], v[195:196], v[203:204]
	v_fma_f64 v[199:200], v[189:190], s[24:25], -v[197:198]
	v_fma_f64 v[197:198], v[189:190], s[24:25], v[197:198]
	v_add_f64 v[193:194], v[193:194], v[201:202]
	v_mul_f64 v[201:202], v[178:179], s[22:23]
	v_add_f64 v[199:200], v[199:200], v[214:215]
	v_add_f64 v[197:198], v[197:198], v[212:213]
	v_mul_f64 v[212:213], v[176:177], s[36:37]
	v_fma_f64 v[203:204], v[191:192], s[24:25], v[201:202]
	v_fma_f64 v[201:202], v[191:192], s[24:25], -v[201:202]
	v_fma_f64 v[214:215], v[189:190], s[28:29], -v[212:213]
	v_fma_f64 v[212:213], v[189:190], s[28:29], v[212:213]
	v_add_f64 v[201:202], v[201:202], v[216:217]
	v_mul_f64 v[216:217], v[178:179], s[36:37]
	v_add_f64 v[203:204], v[203:204], v[218:219]
	v_add_f64 v[214:215], v[214:215], v[222:223]
	v_add_f64 v[212:213], v[212:213], v[220:221]
	v_mul_f64 v[220:221], v[176:177], s[18:19]
	v_fma_f64 v[218:219], v[191:192], s[28:29], v[216:217]
	v_fma_f64 v[216:217], v[191:192], s[28:29], -v[216:217]
	v_mul_f64 v[176:177], v[176:177], s[30:31]
	v_fma_f64 v[222:223], v[189:190], s[6:7], -v[220:221]
	v_fma_f64 v[220:221], v[189:190], s[6:7], v[220:221]
	v_add_f64 v[216:217], v[216:217], v[224:225]
	v_mul_f64 v[224:225], v[178:179], s[18:19]
	v_mul_f64 v[178:179], v[178:179], s[30:31]
	v_add_f64 v[218:219], v[218:219], v[226:227]
	v_add_f64 v[222:223], v[222:223], v[230:231]
	;; [unrolled: 1-line block ×3, first 2 shown]
	v_fma_f64 v[228:229], v[189:190], s[16:17], -v[176:177]
	v_fma_f64 v[176:177], v[189:190], s[16:17], v[176:177]
	v_fma_f64 v[230:231], v[191:192], s[16:17], v[178:179]
	;; [unrolled: 1-line block ×3, first 2 shown]
	v_fma_f64 v[224:225], v[191:192], s[6:7], -v[224:225]
	v_add_f64 v[228:229], v[228:229], v[236:237]
	v_add_f64 v[148:149], v[176:177], v[148:149]
	v_fma_f64 v[176:177], v[191:192], s[16:17], -v[178:179]
	v_add_f64 v[178:179], v[168:169], v[172:173]
	v_add_f64 v[168:169], v[168:169], -v[172:173]
	v_add_f64 v[224:225], v[224:225], v[232:233]
	v_add_f64 v[226:227], v[226:227], v[234:235]
	;; [unrolled: 1-line block ×5, first 2 shown]
	v_mul_f64 v[172:173], v[168:169], s[4:5]
	v_add_f64 v[174:175], v[174:175], -v[180:181]
	v_fma_f64 v[180:181], v[176:177], s[6:7], -v[172:173]
	v_fma_f64 v[172:173], v[176:177], s[6:7], v[172:173]
	v_add_f64 v[180:181], v[180:181], v[186:187]
	v_mul_f64 v[186:187], v[174:175], s[4:5]
	v_add_f64 v[172:173], v[172:173], v[184:185]
	v_fma_f64 v[189:190], v[178:179], s[6:7], v[186:187]
	v_fma_f64 v[184:185], v[178:179], s[6:7], -v[186:187]
	v_mul_f64 v[186:187], v[168:169], s[36:37]
	v_add_f64 v[189:190], v[189:190], v[195:196]
	v_add_f64 v[184:185], v[184:185], v[193:194]
	v_fma_f64 v[191:192], v[176:177], s[28:29], -v[186:187]
	v_fma_f64 v[186:187], v[176:177], s[28:29], v[186:187]
	v_mul_f64 v[193:194], v[174:175], s[36:37]
	v_add_f64 v[191:192], v[191:192], v[199:200]
	v_add_f64 v[186:187], v[186:187], v[197:198]
	v_mul_f64 v[197:198], v[168:169], s[34:35]
	v_fma_f64 v[195:196], v[178:179], s[28:29], v[193:194]
	v_fma_f64 v[193:194], v[178:179], s[28:29], -v[193:194]
	v_fma_f64 v[199:200], v[176:177], s[12:13], -v[197:198]
	v_fma_f64 v[197:198], v[176:177], s[12:13], v[197:198]
	v_add_f64 v[193:194], v[193:194], v[201:202]
	v_mul_f64 v[201:202], v[174:175], s[34:35]
	v_add_f64 v[195:196], v[195:196], v[203:204]
	v_add_f64 v[199:200], v[199:200], v[214:215]
	;; [unrolled: 1-line block ×3, first 2 shown]
	v_mul_f64 v[212:213], v[168:169], s[20:21]
	v_fma_f64 v[203:204], v[178:179], s[12:13], v[201:202]
	v_fma_f64 v[201:202], v[178:179], s[12:13], -v[201:202]
	v_mul_f64 v[168:169], v[168:169], s[22:23]
	v_fma_f64 v[214:215], v[176:177], s[16:17], -v[212:213]
	v_fma_f64 v[212:213], v[176:177], s[16:17], v[212:213]
	v_add_f64 v[201:202], v[201:202], v[216:217]
	v_mul_f64 v[216:217], v[174:175], s[20:21]
	v_mul_f64 v[174:175], v[174:175], s[22:23]
	v_add_f64 v[203:204], v[203:204], v[218:219]
	v_add_f64 v[214:215], v[214:215], v[222:223]
	;; [unrolled: 1-line block ×3, first 2 shown]
	v_fma_f64 v[220:221], v[176:177], s[24:25], -v[168:169]
	v_fma_f64 v[168:169], v[176:177], s[24:25], v[168:169]
	v_fma_f64 v[218:219], v[178:179], s[16:17], v[216:217]
	v_fma_f64 v[216:217], v[178:179], s[16:17], -v[216:217]
	v_fma_f64 v[222:223], v[178:179], s[24:25], v[174:175]
	v_add_f64 v[220:221], v[220:221], v[228:229]
	v_add_f64 v[148:149], v[168:169], v[148:149]
	v_fma_f64 v[168:169], v[178:179], s[24:25], -v[174:175]
	v_add_f64 v[178:179], v[158:159], v[164:165]
	v_add_f64 v[158:159], v[158:159], -v[164:165]
	v_add_f64 v[216:217], v[216:217], v[224:225]
	v_add_f64 v[218:219], v[218:219], v[226:227]
	;; [unrolled: 1-line block ×5, first 2 shown]
	v_mul_f64 v[164:165], v[158:159], s[22:23]
	v_add_f64 v[166:167], v[166:167], -v[170:171]
	v_fma_f64 v[170:171], v[168:169], s[24:25], -v[164:165]
	v_fma_f64 v[164:165], v[168:169], s[24:25], v[164:165]
	v_add_f64 v[180:181], v[170:171], v[180:181]
	v_mul_f64 v[170:171], v[166:167], s[22:23]
	v_add_f64 v[224:225], v[164:165], v[172:173]
	v_fma_f64 v[164:165], v[178:179], s[24:25], -v[170:171]
	v_fma_f64 v[174:175], v[178:179], s[24:25], v[170:171]
	v_add_f64 v[184:185], v[164:165], v[184:185]
	v_mul_f64 v[164:165], v[158:159], s[18:19]
	v_add_f64 v[189:190], v[174:175], v[189:190]
	;; [unrolled: 5-line block ×5, first 2 shown]
	v_fma_f64 v[164:165], v[178:179], s[16:17], -v[170:171]
	v_fma_f64 v[172:173], v[178:179], s[16:17], v[170:171]
	v_add_f64 v[201:202], v[164:165], v[201:202]
	v_mul_f64 v[164:165], v[158:159], s[26:27]
	v_mul_f64 v[158:159], v[158:159], s[34:35]
	v_add_f64 v[203:204], v[172:173], v[203:204]
	v_fma_f64 v[170:171], v[168:169], s[28:29], -v[164:165]
	v_fma_f64 v[164:165], v[168:169], s[28:29], v[164:165]
	v_add_f64 v[214:215], v[170:171], v[214:215]
	v_mul_f64 v[170:171], v[166:167], s[26:27]
	v_add_f64 v[176:177], v[164:165], v[212:213]
	v_fma_f64 v[164:165], v[178:179], s[28:29], -v[170:171]
	v_fma_f64 v[172:173], v[178:179], s[28:29], v[170:171]
	v_add_f64 v[174:175], v[164:165], v[216:217]
	v_fma_f64 v[164:165], v[168:169], s[12:13], -v[158:159]
	v_add_f64 v[218:219], v[172:173], v[218:219]
	v_fma_f64 v[158:159], v[168:169], s[12:13], v[158:159]
	v_add_f64 v[168:169], v[160:161], v[162:163]
	v_add_f64 v[160:161], v[160:161], -v[162:163]
	v_add_f64 v[162:163], v[152:153], -v[154:155]
	v_add_f64 v[172:173], v[164:165], v[220:221]
	v_mul_f64 v[164:165], v[166:167], s[34:35]
	v_fma_f64 v[166:167], v[178:179], s[12:13], v[164:165]
	v_add_f64 v[170:171], v[166:167], v[222:223]
	v_add_f64 v[166:167], v[158:159], v[148:149]
	v_fma_f64 v[148:149], v[178:179], s[12:13], -v[164:165]
	v_add_f64 v[164:165], v[152:153], v[154:155]
	v_mul_f64 v[154:155], v[160:161], s[26:27]
	v_mul_f64 v[152:153], v[162:163], s[26:27]
	v_add_f64 v[158:159], v[148:149], v[150:151]
	v_fma_f64 v[150:151], v[164:165], s[28:29], v[154:155]
	v_fma_f64 v[154:155], v[164:165], s[28:29], -v[154:155]
	v_fma_f64 v[148:149], v[168:169], s[28:29], -v[152:153]
	v_fma_f64 v[152:153], v[168:169], s[28:29], v[152:153]
	v_add_f64 v[150:151], v[150:151], v[189:190]
	v_add_f64 v[154:155], v[154:155], v[184:185]
	v_mul_f64 v[184:185], v[162:163], s[30:31]
	v_mul_f64 v[189:190], v[160:161], s[30:31]
	v_add_f64 v[148:149], v[148:149], v[180:181]
	v_add_f64 v[152:153], v[152:153], v[224:225]
	v_fma_f64 v[178:179], v[168:169], s[16:17], -v[184:185]
	v_fma_f64 v[180:181], v[164:165], s[16:17], v[189:190]
	v_fma_f64 v[184:185], v[168:169], s[16:17], v[184:185]
	v_add_f64 v[178:179], v[178:179], v[191:192]
	v_add_f64 v[180:181], v[180:181], v[195:196]
	;; [unrolled: 1-line block ×3, first 2 shown]
	v_fma_f64 v[186:187], v[164:165], s[16:17], -v[189:190]
	v_mul_f64 v[195:196], v[160:161], s[22:23]
	v_add_f64 v[186:187], v[186:187], v[193:194]
	v_mul_f64 v[193:194], v[162:163], s[22:23]
	v_fma_f64 v[191:192], v[164:165], s[24:25], v[195:196]
	v_fma_f64 v[195:196], v[164:165], s[24:25], -v[195:196]
	v_fma_f64 v[189:190], v[168:169], s[24:25], -v[193:194]
	v_fma_f64 v[193:194], v[168:169], s[24:25], v[193:194]
	v_add_f64 v[195:196], v[195:196], v[201:202]
	v_mul_f64 v[201:202], v[162:163], s[34:35]
	v_add_f64 v[191:192], v[191:192], v[203:204]
	v_mul_f64 v[203:204], v[160:161], s[34:35]
	v_mul_f64 v[162:163], v[162:163], s[4:5]
	v_add_f64 v[189:190], v[189:190], v[199:200]
	v_add_f64 v[193:194], v[193:194], v[197:198]
	v_fma_f64 v[197:198], v[168:169], s[12:13], -v[201:202]
	v_fma_f64 v[201:202], v[168:169], s[12:13], v[201:202]
	v_fma_f64 v[199:200], v[164:165], s[12:13], v[203:204]
	v_add_f64 v[197:198], v[197:198], v[214:215]
	v_add_f64 v[201:202], v[201:202], v[176:177]
	v_fma_f64 v[176:177], v[164:165], s[12:13], -v[203:204]
	v_add_f64 v[199:200], v[199:200], v[218:219]
	v_add_f64 v[203:204], v[176:177], v[174:175]
	v_mul_f64 v[176:177], v[160:161], s[4:5]
	v_fma_f64 v[174:175], v[168:169], s[6:7], -v[162:163]
	v_fma_f64 v[160:161], v[164:165], s[6:7], v[176:177]
	v_add_f64 v[172:173], v[174:175], v[172:173]
	v_add_f64 v[174:175], v[160:161], v[170:171]
	v_fma_f64 v[160:161], v[168:169], s[6:7], v[162:163]
	v_fma_f64 v[162:163], v[164:165], s[6:7], -v[176:177]
	v_add_f64 v[160:161], v[160:161], v[166:167]
	v_add_f64 v[162:163], v[162:163], v[158:159]
	ds_write_b128 v206, v[144:147]
	ds_write_b128 v206, v[148:151] offset:1232
	ds_write_b128 v206, v[178:181] offset:2464
	;; [unrolled: 1-line block ×10, first 2 shown]
	s_waitcnt lgkmcnt(0)
	s_barrier
	buffer_gl0_inv
	global_load_dwordx4 v[148:151], v[156:157], off offset:1264
	ds_read_b128 v[144:147], v206
	v_add_co_u32 v158, s0, 0x34f0, v182
	v_add_co_ci_u32_e64 v159, s0, 0, v183, s0
	s_waitcnt vmcnt(0) lgkmcnt(0)
	v_mul_f64 v[152:153], v[146:147], v[150:151]
	v_fma_f64 v[152:153], v[144:145], v[148:149], -v[152:153]
	v_mul_f64 v[144:145], v[144:145], v[150:151]
	v_fma_f64 v[154:155], v[146:147], v[148:149], v[144:145]
	global_load_dwordx4 v[148:151], v[158:159], off offset:1232
	ds_read_b128 v[144:147], v206 offset:1232
	ds_write_b128 v206, v[152:155]
	s_waitcnt vmcnt(0) lgkmcnt(1)
	v_mul_f64 v[152:153], v[146:147], v[150:151]
	v_fma_f64 v[152:153], v[144:145], v[148:149], -v[152:153]
	v_mul_f64 v[144:145], v[144:145], v[150:151]
	v_fma_f64 v[154:155], v[146:147], v[148:149], v[144:145]
	v_add_co_u32 v148, s0, 0x3800, v182
	v_add_co_ci_u32_e64 v149, s0, 0, v183, s0
	ds_read_b128 v[144:147], v206 offset:2464
	global_load_dwordx4 v[148:151], v[148:149], off offset:1680
	ds_write_b128 v206, v[152:155] offset:1232
	s_waitcnt vmcnt(0) lgkmcnt(1)
	v_mul_f64 v[152:153], v[146:147], v[150:151]
	v_fma_f64 v[152:153], v[144:145], v[148:149], -v[152:153]
	v_mul_f64 v[144:145], v[144:145], v[150:151]
	v_fma_f64 v[154:155], v[146:147], v[148:149], v[144:145]
	v_add_co_u32 v148, s0, 0x4000, v182
	v_add_co_ci_u32_e64 v149, s0, 0, v183, s0
	ds_read_b128 v[144:147], v206 offset:3696
	v_add_co_u32 v156, s0, 0x4800, v182
	global_load_dwordx4 v[148:151], v[148:149], off offset:864
	v_add_co_ci_u32_e64 v157, s0, 0, v183, s0
	ds_write_b128 v206, v[152:155] offset:2464
	s_waitcnt vmcnt(0) lgkmcnt(1)
	v_mul_f64 v[152:153], v[146:147], v[150:151]
	v_fma_f64 v[152:153], v[144:145], v[148:149], -v[152:153]
	v_mul_f64 v[144:145], v[144:145], v[150:151]
	v_fma_f64 v[154:155], v[146:147], v[148:149], v[144:145]
	global_load_dwordx4 v[148:151], v[156:157], off offset:48
	ds_read_b128 v[144:147], v206 offset:4928
	ds_write_b128 v206, v[152:155] offset:3696
	s_waitcnt vmcnt(0) lgkmcnt(1)
	v_mul_f64 v[152:153], v[146:147], v[150:151]
	v_fma_f64 v[152:153], v[144:145], v[148:149], -v[152:153]
	v_mul_f64 v[144:145], v[144:145], v[150:151]
	v_fma_f64 v[154:155], v[146:147], v[148:149], v[144:145]
	global_load_dwordx4 v[148:151], v[156:157], off offset:1280
	ds_read_b128 v[144:147], v206 offset:6160
	v_add_co_u32 v156, s0, 0x5000, v182
	v_add_co_ci_u32_e64 v157, s0, 0, v183, s0
	ds_write_b128 v206, v[152:155] offset:4928
	s_waitcnt vmcnt(0) lgkmcnt(1)
	v_mul_f64 v[152:153], v[146:147], v[150:151]
	v_fma_f64 v[152:153], v[144:145], v[148:149], -v[152:153]
	v_mul_f64 v[144:145], v[144:145], v[150:151]
	v_fma_f64 v[154:155], v[146:147], v[148:149], v[144:145]
	global_load_dwordx4 v[148:151], v[156:157], off offset:464
	ds_read_b128 v[144:147], v206 offset:7392
	ds_write_b128 v206, v[152:155] offset:6160
	s_waitcnt vmcnt(0) lgkmcnt(1)
	v_mul_f64 v[152:153], v[146:147], v[150:151]
	v_fma_f64 v[152:153], v[144:145], v[148:149], -v[152:153]
	v_mul_f64 v[144:145], v[144:145], v[150:151]
	v_fma_f64 v[154:155], v[146:147], v[148:149], v[144:145]
	global_load_dwordx4 v[148:151], v[156:157], off offset:1696
	ds_read_b128 v[144:147], v206 offset:8624
	ds_write_b128 v206, v[152:155] offset:7392
	s_waitcnt vmcnt(0) lgkmcnt(1)
	v_mul_f64 v[152:153], v[146:147], v[150:151]
	v_fma_f64 v[152:153], v[144:145], v[148:149], -v[152:153]
	v_mul_f64 v[144:145], v[144:145], v[150:151]
	v_fma_f64 v[154:155], v[146:147], v[148:149], v[144:145]
	v_add_co_u32 v148, s0, 0x5800, v182
	v_add_co_ci_u32_e64 v149, s0, 0, v183, s0
	ds_read_b128 v[144:147], v206 offset:9856
	v_add_co_u32 v156, s0, 0x6000, v182
	global_load_dwordx4 v[148:151], v[148:149], off offset:880
	v_add_co_ci_u32_e64 v157, s0, 0, v183, s0
	s_mov_b32 s0, s22
	ds_write_b128 v206, v[152:155] offset:8624
	s_waitcnt vmcnt(0) lgkmcnt(1)
	v_mul_f64 v[152:153], v[146:147], v[150:151]
	v_fma_f64 v[152:153], v[144:145], v[148:149], -v[152:153]
	v_mul_f64 v[144:145], v[144:145], v[150:151]
	v_fma_f64 v[154:155], v[146:147], v[148:149], v[144:145]
	global_load_dwordx4 v[148:151], v[156:157], off offset:64
	ds_read_b128 v[144:147], v206 offset:11088
	ds_write_b128 v206, v[152:155] offset:9856
	s_waitcnt vmcnt(0) lgkmcnt(1)
	v_mul_f64 v[152:153], v[146:147], v[150:151]
	v_fma_f64 v[152:153], v[144:145], v[148:149], -v[152:153]
	v_mul_f64 v[144:145], v[144:145], v[150:151]
	v_fma_f64 v[154:155], v[146:147], v[148:149], v[144:145]
	global_load_dwordx4 v[148:151], v[156:157], off offset:1296
	ds_read_b128 v[144:147], v206 offset:12320
	ds_write_b128 v206, v[152:155] offset:11088
	s_waitcnt vmcnt(0) lgkmcnt(1)
	v_mul_f64 v[152:153], v[146:147], v[150:151]
	v_fma_f64 v[152:153], v[144:145], v[148:149], -v[152:153]
	v_mul_f64 v[144:145], v[144:145], v[150:151]
	v_fma_f64 v[154:155], v[146:147], v[148:149], v[144:145]
	ds_write_b128 v206, v[152:155] offset:12320
	s_waitcnt lgkmcnt(0)
	s_barrier
	buffer_gl0_inv
	ds_read_b128 v[156:159], v206
	ds_read_b128 v[160:163], v206 offset:1232
	ds_read_b128 v[164:167], v206 offset:2464
	;; [unrolled: 1-line block ×10, first 2 shown]
	s_waitcnt lgkmcnt(0)
	s_barrier
	buffer_gl0_inv
	v_add_f64 v[144:145], v[156:157], v[160:161]
	v_add_f64 v[146:147], v[158:159], v[162:163]
	;; [unrolled: 1-line block ×3, first 2 shown]
	v_add_f64 v[162:163], v[162:163], -v[191:192]
	v_add_f64 v[193:194], v[160:161], v[189:190]
	v_add_f64 v[160:161], v[160:161], -v[189:190]
	v_add_f64 v[144:145], v[144:145], v[164:165]
	v_add_f64 v[146:147], v[146:147], v[166:167]
	v_mul_f64 v[197:198], v[195:196], s[16:17]
	v_mul_f64 v[201:202], v[162:163], s[14:15]
	;; [unrolled: 1-line block ×8, first 2 shown]
	v_add_f64 v[144:145], v[144:145], v[168:169]
	v_add_f64 v[146:147], v[146:147], v[170:171]
	v_fma_f64 v[199:200], v[160:161], s[30:31], v[197:198]
	v_fma_f64 v[203:204], v[193:194], s[12:13], v[201:202]
	v_fma_f64 v[201:202], v[193:194], s[12:13], -v[201:202]
	v_fma_f64 v[218:219], v[193:194], s[6:7], v[216:217]
	v_fma_f64 v[216:217], v[193:194], s[6:7], -v[216:217]
	;; [unrolled: 2-line block ×3, first 2 shown]
	v_fma_f64 v[197:198], v[160:161], s[20:21], v[197:198]
	v_fma_f64 v[214:215], v[160:161], s[34:35], v[212:213]
	;; [unrolled: 1-line block ×6, first 2 shown]
	v_add_f64 v[144:145], v[144:145], v[172:173]
	v_add_f64 v[146:147], v[146:147], v[174:175]
	v_fma_f64 v[228:229], v[160:161], s[22:23], v[228:229]
	v_fma_f64 v[234:235], v[160:161], s[36:37], v[195:196]
	;; [unrolled: 1-line block ×3, first 2 shown]
	v_add_f64 v[199:200], v[158:159], v[199:200]
	v_add_f64 v[203:204], v[156:157], v[203:204]
	;; [unrolled: 1-line block ×19, first 2 shown]
	v_add_f64 v[164:165], v[164:165], -v[184:185]
	v_add_f64 v[144:145], v[144:145], v[152:153]
	v_add_f64 v[146:147], v[146:147], v[154:155]
	;; [unrolled: 1-line block ×9, first 2 shown]
	v_mul_f64 v[189:190], v[162:163], s[20:21]
	v_mul_f64 v[162:163], v[162:163], s[26:27]
	v_add_f64 v[146:147], v[146:147], v[191:192]
	v_fma_f64 v[191:192], v[193:194], s[16:17], v[189:190]
	v_fma_f64 v[189:190], v[193:194], s[16:17], -v[189:190]
	v_fma_f64 v[232:233], v[193:194], s[28:29], v[162:163]
	v_fma_f64 v[162:163], v[193:194], s[28:29], -v[162:163]
	v_add_f64 v[191:192], v[156:157], v[191:192]
	v_add_f64 v[189:190], v[156:157], v[189:190]
	;; [unrolled: 1-line block ×5, first 2 shown]
	v_add_f64 v[166:167], v[166:167], -v[186:187]
	v_mul_f64 v[184:185], v[166:167], s[14:15]
	v_fma_f64 v[186:187], v[160:161], s[12:13], v[184:185]
	v_fma_f64 v[184:185], v[160:161], s[12:13], -v[184:185]
	v_add_f64 v[186:187], v[186:187], v[191:192]
	v_mul_f64 v[191:192], v[162:163], s[12:13]
	v_add_f64 v[184:185], v[184:185], v[189:190]
	v_fma_f64 v[193:194], v[164:165], s[34:35], v[191:192]
	v_fma_f64 v[189:190], v[164:165], s[14:15], v[191:192]
	v_mul_f64 v[191:192], v[166:167], s[22:23]
	v_add_f64 v[193:194], v[193:194], v[199:200]
	v_add_f64 v[189:190], v[189:190], v[197:198]
	v_fma_f64 v[195:196], v[160:161], s[24:25], v[191:192]
	v_fma_f64 v[191:192], v[160:161], s[24:25], -v[191:192]
	v_mul_f64 v[197:198], v[162:163], s[24:25]
	v_add_f64 v[195:196], v[195:196], v[203:204]
	v_add_f64 v[191:192], v[191:192], v[201:202]
	v_mul_f64 v[201:202], v[166:167], s[36:37]
	v_fma_f64 v[199:200], v[164:165], s[0:1], v[197:198]
	v_fma_f64 v[197:198], v[164:165], s[22:23], v[197:198]
	;; [unrolled: 1-line block ×3, first 2 shown]
	v_fma_f64 v[201:202], v[160:161], s[28:29], -v[201:202]
	v_add_f64 v[197:198], v[197:198], v[212:213]
	v_mul_f64 v[212:213], v[162:163], s[28:29]
	v_add_f64 v[199:200], v[199:200], v[214:215]
	v_add_f64 v[203:204], v[203:204], v[218:219]
	;; [unrolled: 1-line block ×3, first 2 shown]
	v_mul_f64 v[216:217], v[166:167], s[18:19]
	v_fma_f64 v[214:215], v[164:165], s[26:27], v[212:213]
	v_fma_f64 v[212:213], v[164:165], s[36:37], v[212:213]
	v_mul_f64 v[166:167], v[166:167], s[30:31]
	v_fma_f64 v[218:219], v[160:161], s[6:7], v[216:217]
	v_fma_f64 v[216:217], v[160:161], s[6:7], -v[216:217]
	v_add_f64 v[212:213], v[212:213], v[220:221]
	v_mul_f64 v[220:221], v[162:163], s[6:7]
	v_mul_f64 v[162:163], v[162:163], s[16:17]
	v_add_f64 v[214:215], v[214:215], v[222:223]
	v_add_f64 v[218:219], v[218:219], v[226:227]
	;; [unrolled: 1-line block ×3, first 2 shown]
	v_fma_f64 v[224:225], v[160:161], s[16:17], v[166:167]
	v_fma_f64 v[160:161], v[160:161], s[16:17], -v[166:167]
	v_add_f64 v[166:167], v[170:171], -v[182:183]
	v_fma_f64 v[222:223], v[164:165], s[4:5], v[220:221]
	v_fma_f64 v[220:221], v[164:165], s[18:19], v[220:221]
	;; [unrolled: 1-line block ×3, first 2 shown]
	v_add_f64 v[224:225], v[224:225], v[232:233]
	v_add_f64 v[156:157], v[160:161], v[156:157]
	v_fma_f64 v[160:161], v[164:165], s[30:31], v[162:163]
	v_add_f64 v[162:163], v[170:171], v[182:183]
	v_add_f64 v[164:165], v[168:169], -v[180:181]
	v_add_f64 v[220:221], v[220:221], v[228:229]
	v_add_f64 v[222:223], v[222:223], v[230:231]
	;; [unrolled: 1-line block ×4, first 2 shown]
	v_add_f64 v[178:179], v[174:175], -v[178:179]
	v_add_f64 v[230:231], v[172:173], v[176:177]
	v_add_f64 v[176:177], v[172:173], -v[176:177]
	v_add_f64 v[158:159], v[160:161], v[158:159]
	v_add_f64 v[160:161], v[168:169], v[180:181]
	v_mul_f64 v[168:169], v[166:167], s[4:5]
	v_mul_f64 v[180:181], v[162:163], s[6:7]
	v_fma_f64 v[170:171], v[160:161], s[6:7], v[168:169]
	v_fma_f64 v[168:169], v[160:161], s[6:7], -v[168:169]
	v_fma_f64 v[182:183], v[164:165], s[18:19], v[180:181]
	v_fma_f64 v[180:181], v[164:165], s[4:5], v[180:181]
	v_add_f64 v[170:171], v[170:171], v[186:187]
	v_add_f64 v[168:169], v[168:169], v[184:185]
	v_mul_f64 v[184:185], v[166:167], s[36:37]
	v_add_f64 v[180:181], v[180:181], v[189:190]
	v_mul_f64 v[189:190], v[162:163], s[28:29]
	v_add_f64 v[182:183], v[182:183], v[193:194]
	v_fma_f64 v[186:187], v[160:161], s[28:29], v[184:185]
	v_fma_f64 v[184:185], v[160:161], s[28:29], -v[184:185]
	v_fma_f64 v[193:194], v[164:165], s[26:27], v[189:190]
	v_fma_f64 v[189:190], v[164:165], s[36:37], v[189:190]
	v_add_f64 v[186:187], v[186:187], v[195:196]
	v_add_f64 v[184:185], v[184:185], v[191:192]
	v_mul_f64 v[191:192], v[166:167], s[34:35]
	v_add_f64 v[199:200], v[193:194], v[199:200]
	v_add_f64 v[189:190], v[189:190], v[197:198]
	v_fma_f64 v[193:194], v[160:161], s[12:13], v[191:192]
	v_fma_f64 v[191:192], v[160:161], s[12:13], -v[191:192]
	v_add_f64 v[197:198], v[193:194], v[203:204]
	v_mul_f64 v[193:194], v[162:163], s[12:13]
	v_add_f64 v[201:202], v[191:192], v[201:202]
	v_fma_f64 v[191:192], v[164:165], s[34:35], v[193:194]
	v_fma_f64 v[195:196], v[164:165], s[14:15], v[193:194]
	v_add_f64 v[212:213], v[191:192], v[212:213]
	v_mul_f64 v[191:192], v[166:167], s[20:21]
	v_add_f64 v[203:204], v[195:196], v[214:215]
	v_mul_f64 v[166:167], v[166:167], s[22:23]
	v_fma_f64 v[193:194], v[160:161], s[16:17], v[191:192]
	v_fma_f64 v[191:192], v[160:161], s[16:17], -v[191:192]
	v_add_f64 v[214:215], v[193:194], v[218:219]
	v_mul_f64 v[193:194], v[162:163], s[16:17]
	v_add_f64 v[216:217], v[191:192], v[216:217]
	v_mul_f64 v[162:163], v[162:163], s[24:25]
	v_fma_f64 v[191:192], v[164:165], s[20:21], v[193:194]
	v_fma_f64 v[195:196], v[164:165], s[30:31], v[193:194]
	v_add_f64 v[220:221], v[191:192], v[220:221]
	v_fma_f64 v[191:192], v[160:161], s[24:25], v[166:167]
	v_add_f64 v[218:219], v[195:196], v[222:223]
	v_fma_f64 v[160:161], v[160:161], s[24:25], -v[166:167]
	v_add_f64 v[222:223], v[191:192], v[224:225]
	v_fma_f64 v[191:192], v[164:165], s[0:1], v[162:163]
	v_add_f64 v[224:225], v[191:192], v[226:227]
	v_add_f64 v[226:227], v[160:161], v[156:157]
	v_fma_f64 v[156:157], v[164:165], s[22:23], v[162:163]
	v_add_f64 v[228:229], v[156:157], v[158:159]
	v_mul_f64 v[156:157], v[178:179], s[22:23]
	v_fma_f64 v[158:159], v[230:231], s[24:25], v[156:157]
	v_fma_f64 v[156:157], v[230:231], s[24:25], -v[156:157]
	v_add_f64 v[164:165], v[158:159], v[170:171]
	v_mul_f64 v[158:159], v[232:233], s[24:25]
	v_add_f64 v[193:194], v[156:157], v[168:169]
	v_fma_f64 v[156:157], v[176:177], s[22:23], v[158:159]
	v_fma_f64 v[160:161], v[176:177], s[0:1], v[158:159]
	v_add_f64 v[195:196], v[156:157], v[180:181]
	v_mul_f64 v[156:157], v[178:179], s[18:19]
	v_add_f64 v[166:167], v[160:161], v[182:183]
	v_fma_f64 v[158:159], v[230:231], s[6:7], v[156:157]
	v_fma_f64 v[156:157], v[230:231], s[6:7], -v[156:157]
	v_add_f64 v[168:169], v[158:159], v[186:187]
	v_mul_f64 v[158:159], v[232:233], s[6:7]
	v_add_f64 v[191:192], v[156:157], v[184:185]
	v_fma_f64 v[156:157], v[176:177], s[18:19], v[158:159]
	v_fma_f64 v[160:161], v[176:177], s[4:5], v[158:159]
	v_add_f64 v[189:190], v[156:157], v[189:190]
	v_mul_f64 v[156:157], v[178:179], s[20:21]
	v_add_f64 v[170:171], v[160:161], v[199:200]
	v_add_f64 v[199:200], v[148:149], v[152:153]
	v_fma_f64 v[158:159], v[230:231], s[16:17], v[156:157]
	v_fma_f64 v[156:157], v[230:231], s[16:17], -v[156:157]
	v_add_f64 v[172:173], v[158:159], v[197:198]
	v_mul_f64 v[158:159], v[232:233], s[16:17]
	v_mul_f64 v[197:198], v[232:233], s[12:13]
	v_fma_f64 v[160:161], v[176:177], s[30:31], v[158:159]
	v_add_f64 v[174:175], v[160:161], v[203:204]
	v_add_f64 v[160:161], v[156:157], v[201:202]
	v_fma_f64 v[156:157], v[176:177], s[20:21], v[158:159]
	v_add_f64 v[203:204], v[150:151], -v[154:155]
	v_add_f64 v[201:202], v[150:151], v[154:155]
	v_add_f64 v[162:163], v[156:157], v[212:213]
	v_mul_f64 v[156:157], v[178:179], s[26:27]
	v_mul_f64 v[178:179], v[178:179], s[34:35]
	v_fma_f64 v[158:159], v[230:231], s[28:29], v[156:157]
	v_fma_f64 v[156:157], v[230:231], s[28:29], -v[156:157]
	v_add_f64 v[184:185], v[158:159], v[214:215]
	v_mul_f64 v[158:159], v[232:233], s[28:29]
	v_add_f64 v[156:157], v[156:157], v[216:217]
	v_fma_f64 v[180:181], v[176:177], s[36:37], v[158:159]
	v_fma_f64 v[158:159], v[176:177], s[26:27], v[158:159]
	v_add_f64 v[186:187], v[180:181], v[218:219]
	v_fma_f64 v[180:181], v[230:231], s[12:13], v[178:179]
	v_add_f64 v[158:159], v[158:159], v[220:221]
	v_fma_f64 v[178:179], v[230:231], s[12:13], -v[178:179]
	v_add_f64 v[182:183], v[180:181], v[222:223]
	v_fma_f64 v[180:181], v[176:177], s[14:15], v[197:198]
	v_fma_f64 v[176:177], v[176:177], s[34:35], v[197:198]
	v_add_f64 v[197:198], v[148:149], -v[152:153]
	v_mul_f64 v[148:149], v[203:204], s[26:27]
	v_add_f64 v[178:179], v[178:179], v[226:227]
	v_add_f64 v[180:181], v[180:181], v[224:225]
	;; [unrolled: 1-line block ×3, first 2 shown]
	v_fma_f64 v[150:151], v[199:200], s[28:29], v[148:149]
	v_fma_f64 v[148:149], v[199:200], s[28:29], -v[148:149]
	v_add_f64 v[164:165], v[150:151], v[164:165]
	v_mul_f64 v[150:151], v[201:202], s[28:29]
	v_add_f64 v[148:149], v[148:149], v[193:194]
	v_fma_f64 v[152:153], v[197:198], s[36:37], v[150:151]
	v_fma_f64 v[150:151], v[197:198], s[26:27], v[150:151]
	v_add_f64 v[166:167], v[152:153], v[166:167]
	v_mul_f64 v[152:153], v[203:204], s[30:31]
	v_add_f64 v[150:151], v[150:151], v[195:196]
	v_fma_f64 v[154:155], v[199:200], s[16:17], v[152:153]
	v_fma_f64 v[152:153], v[199:200], s[16:17], -v[152:153]
	v_add_f64 v[168:169], v[154:155], v[168:169]
	v_mul_f64 v[154:155], v[201:202], s[16:17]
	v_add_f64 v[152:153], v[152:153], v[191:192]
	v_fma_f64 v[193:194], v[197:198], s[20:21], v[154:155]
	v_fma_f64 v[154:155], v[197:198], s[30:31], v[154:155]
	v_add_f64 v[170:171], v[193:194], v[170:171]
	v_add_f64 v[154:155], v[154:155], v[189:190]
	v_mul_f64 v[189:190], v[203:204], s[22:23]
	v_fma_f64 v[191:192], v[199:200], s[24:25], v[189:190]
	v_fma_f64 v[189:190], v[199:200], s[24:25], -v[189:190]
	v_add_f64 v[172:173], v[191:192], v[172:173]
	v_mul_f64 v[191:192], v[201:202], s[24:25]
	v_add_f64 v[160:161], v[189:190], v[160:161]
	v_fma_f64 v[189:190], v[197:198], s[22:23], v[191:192]
	v_fma_f64 v[193:194], v[197:198], s[0:1], v[191:192]
	v_add_f64 v[162:163], v[189:190], v[162:163]
	v_mul_f64 v[189:190], v[203:204], s[34:35]
	v_add_f64 v[174:175], v[193:194], v[174:175]
	v_fma_f64 v[191:192], v[199:200], s[12:13], v[189:190]
	v_fma_f64 v[189:190], v[199:200], s[12:13], -v[189:190]
	v_add_f64 v[184:185], v[191:192], v[184:185]
	v_mul_f64 v[191:192], v[201:202], s[12:13]
	v_add_f64 v[156:157], v[189:190], v[156:157]
	v_fma_f64 v[193:194], v[197:198], s[14:15], v[191:192]
	v_fma_f64 v[189:190], v[197:198], s[34:35], v[191:192]
	v_add_f64 v[186:187], v[193:194], v[186:187]
	v_mul_f64 v[193:194], v[203:204], s[4:5]
	v_add_f64 v[158:159], v[189:190], v[158:159]
	v_fma_f64 v[189:190], v[199:200], s[6:7], v[193:194]
	v_add_f64 v[189:190], v[189:190], v[182:183]
	v_mul_f64 v[182:183], v[201:202], s[6:7]
	v_fma_f64 v[191:192], v[197:198], s[18:19], v[182:183]
	v_add_f64 v[191:192], v[191:192], v[180:181]
	v_fma_f64 v[180:181], v[199:200], s[6:7], -v[193:194]
	v_add_f64 v[178:179], v[180:181], v[178:179]
	v_fma_f64 v[180:181], v[197:198], s[4:5], v[182:183]
	v_add_f64 v[180:181], v[180:181], v[176:177]
	ds_write_b128 v210, v[144:147]
	ds_write_b128 v210, v[164:167] offset:16
	ds_write_b128 v210, v[168:171] offset:32
	;; [unrolled: 1-line block ×10, first 2 shown]
	s_waitcnt lgkmcnt(0)
	s_barrier
	buffer_gl0_inv
	ds_read_b128 v[144:147], v206
	ds_read_b128 v[180:183], v206 offset:1936
	ds_read_b128 v[176:179], v206 offset:3872
	;; [unrolled: 1-line block ×6, first 2 shown]
	s_and_saveexec_b32 s0, vcc_lo
	s_cbranch_execz .LBB0_7
; %bb.6:
	ds_read_b128 v[156:159], v206 offset:1232
	ds_read_b128 v[160:163], v206 offset:3168
	;; [unrolled: 1-line block ×7, first 2 shown]
.LBB0_7:
	s_or_b32 exec_lo, exec_lo, s0
	s_waitcnt lgkmcnt(5)
	v_mul_f64 v[189:190], v[114:115], v[182:183]
	v_mul_f64 v[114:115], v[114:115], v[180:181]
	s_waitcnt lgkmcnt(4)
	v_mul_f64 v[191:192], v[110:111], v[178:179]
	v_mul_f64 v[110:111], v[110:111], v[176:177]
	s_waitcnt lgkmcnt(0)
	v_mul_f64 v[193:194], v[118:119], v[186:187]
	v_mul_f64 v[118:119], v[118:119], v[184:185]
	v_mul_f64 v[195:196], v[122:123], v[174:175]
	v_mul_f64 v[122:123], v[122:123], v[172:173]
	;; [unrolled: 1-line block ×6, first 2 shown]
	s_mov_b32 s6, 0x37e14327
	s_mov_b32 s14, 0xe976ee23
	;; [unrolled: 1-line block ×10, first 2 shown]
	v_fma_f64 v[180:181], v[112:113], v[180:181], v[189:190]
	v_fma_f64 v[112:113], v[112:113], v[182:183], -v[114:115]
	v_fma_f64 v[114:115], v[108:109], v[176:177], v[191:192]
	v_fma_f64 v[108:109], v[108:109], v[178:179], -v[110:111]
	;; [unrolled: 2-line block ×6, first 2 shown]
	s_mov_b32 s13, 0xbff2aaaa
	s_mov_b32 s16, 0x5476071b
	;; [unrolled: 1-line block ×10, first 2 shown]
	s_barrier
	buffer_gl0_inv
	v_add_f64 v[106:107], v[180:181], v[110:111]
	v_add_f64 v[164:165], v[112:113], v[116:117]
	v_add_f64 v[166:167], v[114:115], v[118:119]
	v_add_f64 v[168:169], v[108:109], v[120:121]
	v_add_f64 v[114:115], v[114:115], -v[118:119]
	v_add_f64 v[108:109], v[108:109], -v[120:121]
	v_add_f64 v[118:119], v[122:123], v[102:103]
	v_add_f64 v[120:121], v[100:101], v[104:105]
	v_add_f64 v[102:103], v[102:103], -v[122:123]
	v_add_f64 v[100:101], v[104:105], -v[100:101]
	;; [unrolled: 1-line block ×4, first 2 shown]
	v_add_f64 v[112:113], v[166:167], v[106:107]
	v_add_f64 v[116:117], v[168:169], v[164:165]
	v_add_f64 v[122:123], v[106:107], -v[118:119]
	v_add_f64 v[170:171], v[164:165], -v[120:121]
	;; [unrolled: 1-line block ×6, first 2 shown]
	v_add_f64 v[114:115], v[102:103], v[114:115]
	v_add_f64 v[108:109], v[100:101], v[108:109]
	v_add_f64 v[180:181], v[104:105], -v[102:103]
	v_add_f64 v[182:183], v[110:111], -v[100:101]
	v_add_f64 v[106:107], v[166:167], -v[106:107]
	v_add_f64 v[112:113], v[118:119], v[112:113]
	v_add_f64 v[116:117], v[120:121], v[116:117]
	v_add_f64 v[118:119], v[118:119], -v[166:167]
	v_add_f64 v[120:121], v[120:121], -v[168:169]
	v_mul_f64 v[122:123], v[122:123], s[6:7]
	v_mul_f64 v[170:171], v[170:171], s[6:7]
	v_mul_f64 v[172:173], v[172:173], s[14:15]
	v_mul_f64 v[174:175], v[174:175], s[14:15]
	v_mul_f64 v[184:185], v[176:177], s[0:1]
	v_mul_f64 v[186:187], v[178:179], s[0:1]
	v_add_f64 v[104:105], v[114:115], v[104:105]
	v_add_f64 v[108:109], v[108:109], v[110:111]
	;; [unrolled: 1-line block ×4, first 2 shown]
	v_add_f64 v[144:145], v[168:169], -v[164:165]
	v_mul_f64 v[146:147], v[118:119], s[4:5]
	v_mul_f64 v[164:165], v[120:121], s[4:5]
	v_fma_f64 v[110:111], v[118:119], s[4:5], v[122:123]
	v_fma_f64 v[114:115], v[120:121], s[4:5], v[170:171]
	;; [unrolled: 1-line block ×4, first 2 shown]
	v_fma_f64 v[166:167], v[176:177], s[0:1], -v[172:173]
	v_fma_f64 v[168:169], v[178:179], s[0:1], -v[174:175]
	;; [unrolled: 1-line block ×5, first 2 shown]
	v_fma_f64 v[112:113], v[112:113], s[12:13], v[100:101]
	v_fma_f64 v[116:117], v[116:117], s[12:13], v[102:103]
	v_fma_f64 v[170:171], v[144:145], s[18:19], -v[170:171]
	v_fma_f64 v[106:107], v[106:107], s[16:17], -v[146:147]
	;; [unrolled: 1-line block ×3, first 2 shown]
	v_fma_f64 v[146:147], v[104:105], s[24:25], v[118:119]
	v_fma_f64 v[164:165], v[108:109], s[24:25], v[120:121]
	;; [unrolled: 1-line block ×6, first 2 shown]
	v_add_f64 v[172:173], v[110:111], v[112:113]
	v_add_f64 v[174:175], v[114:115], v[116:117]
	;; [unrolled: 1-line block ×7, first 2 shown]
	v_add_f64 v[106:107], v[174:175], -v[146:147]
	v_add_f64 v[108:109], v[168:169], v[122:123]
	v_add_f64 v[110:111], v[170:171], -v[166:167]
	v_add_f64 v[112:113], v[176:177], -v[120:121]
	v_add_f64 v[114:115], v[118:119], v[144:145]
	v_add_f64 v[116:117], v[120:121], v[176:177]
	v_add_f64 v[118:119], v[144:145], -v[118:119]
	v_add_f64 v[120:121], v[122:123], -v[168:169]
	v_add_f64 v[122:123], v[166:167], v[170:171]
	v_add_f64 v[144:145], v[172:173], -v[164:165]
	v_add_f64 v[146:147], v[146:147], v[174:175]
	ds_write_b128 v211, v[100:103]
	ds_write_b128 v211, v[104:107] offset:176
	ds_write_b128 v211, v[108:111] offset:352
	;; [unrolled: 1-line block ×6, first 2 shown]
	s_and_saveexec_b32 s26, vcc_lo
	s_cbranch_execz .LBB0_9
; %bb.8:
	v_mul_f64 v[100:101], v[62:63], v[140:141]
	v_mul_f64 v[102:103], v[54:55], v[160:161]
	;; [unrolled: 1-line block ×12, first 2 shown]
	v_fma_f64 v[100:101], v[60:61], v[142:143], -v[100:101]
	v_fma_f64 v[102:103], v[52:53], v[162:163], -v[102:103]
	;; [unrolled: 1-line block ×4, first 2 shown]
	v_fma_f64 v[52:53], v[52:53], v[160:161], v[54:55]
	v_fma_f64 v[54:55], v[60:61], v[140:141], v[62:63]
	;; [unrolled: 1-line block ×6, first 2 shown]
	v_fma_f64 v[44:45], v[44:45], v[150:151], -v[46:47]
	v_fma_f64 v[46:47], v[56:57], v[134:135], -v[58:59]
	v_add_f64 v[56:57], v[102:103], v[100:101]
	v_add_f64 v[58:59], v[106:107], v[104:105]
	;; [unrolled: 1-line block ×3, first 2 shown]
	v_add_f64 v[52:53], v[52:53], -v[54:55]
	v_add_f64 v[66:67], v[48:49], v[50:51]
	v_add_f64 v[48:49], v[48:49], -v[50:51]
	v_add_f64 v[108:109], v[60:61], -v[62:63]
	v_add_f64 v[60:61], v[62:63], v[60:61]
	v_add_f64 v[50:51], v[44:45], v[46:47]
	v_add_f64 v[44:45], v[46:47], -v[44:45]
	v_add_f64 v[46:47], v[106:107], -v[104:105]
	;; [unrolled: 1-line block ×3, first 2 shown]
	v_add_f64 v[54:55], v[58:59], v[56:57]
	v_add_f64 v[100:101], v[66:67], v[64:65]
	v_add_f64 v[110:111], v[48:49], -v[52:53]
	v_add_f64 v[102:103], v[108:109], -v[48:49]
	;; [unrolled: 1-line block ×7, first 2 shown]
	v_add_f64 v[48:49], v[108:109], v[48:49]
	v_add_f64 v[108:109], v[44:45], v[46:47]
	v_add_f64 v[120:121], v[62:63], -v[44:45]
	v_add_f64 v[56:57], v[58:59], -v[56:57]
	;; [unrolled: 1-line block ×3, first 2 shown]
	v_add_f64 v[54:55], v[50:51], v[54:55]
	v_add_f64 v[50:51], v[50:51], -v[58:59]
	v_add_f64 v[100:101], v[60:61], v[100:101]
	v_add_f64 v[60:61], v[60:61], -v[66:67]
	v_mul_f64 v[102:103], v[102:103], s[14:15]
	v_mul_f64 v[106:107], v[106:107], s[6:7]
	;; [unrolled: 1-line block ×6, first 2 shown]
	v_add_f64 v[48:49], v[48:49], v[52:53]
	v_add_f64 v[52:53], v[108:109], v[62:63]
	v_add_f64 v[46:47], v[158:159], v[54:55]
	v_mul_f64 v[58:59], v[50:51], s[4:5]
	v_add_f64 v[44:45], v[156:157], v[100:101]
	v_mul_f64 v[66:67], v[60:61], s[4:5]
	v_fma_f64 v[62:63], v[116:117], s[20:21], v[102:103]
	v_fma_f64 v[60:61], v[60:61], s[4:5], v[106:107]
	;; [unrolled: 1-line block ×3, first 2 shown]
	v_fma_f64 v[108:109], v[116:117], s[22:23], -v[118:119]
	v_fma_f64 v[102:103], v[110:111], s[0:1], -v[102:103]
	;; [unrolled: 1-line block ×5, first 2 shown]
	v_mov_b32_e32 v118, 0x4d
	v_fma_f64 v[54:55], v[54:55], s[12:13], v[46:47]
	v_fma_f64 v[56:57], v[56:57], s[16:17], -v[58:59]
	v_fma_f64 v[58:59], v[120:121], s[20:21], v[112:113]
	v_fma_f64 v[112:113], v[114:115], s[0:1], -v[112:113]
	;; [unrolled: 2-line block ×3, first 2 shown]
	v_fma_f64 v[114:115], v[48:49], s[24:25], v[62:63]
	v_fma_f64 v[66:67], v[48:49], s[24:25], v[108:109]
	;; [unrolled: 1-line block ×4, first 2 shown]
	v_add_f64 v[102:103], v[50:51], v[54:55]
	v_add_f64 v[104:105], v[104:105], v[54:55]
	v_fma_f64 v[108:109], v[52:53], s[24:25], v[58:59]
	v_fma_f64 v[52:53], v[52:53], s[24:25], v[112:113]
	v_add_f64 v[112:113], v[60:61], v[100:101]
	v_add_f64 v[106:107], v[106:107], v[100:101]
	v_add_f64 v[56:57], v[56:57], v[54:55]
	v_add_f64 v[116:117], v[64:65], v[100:101]
	v_add_f64 v[50:51], v[114:115], v[102:103]
	v_add_f64 v[102:103], v[102:103], -v[114:115]
	v_add_f64 v[54:55], v[66:67], v[104:105]
	v_add_f64 v[66:67], v[104:105], -v[66:67]
	v_add_f64 v[100:101], v[108:109], v[112:113]
	v_add_f64 v[64:65], v[110:111], v[106:107]
	;; [unrolled: 1-line block ×3, first 2 shown]
	v_add_f64 v[60:61], v[116:117], -v[52:53]
	v_add_f64 v[58:59], v[56:57], -v[48:49]
	v_add_f64 v[56:57], v[52:53], v[116:117]
	v_add_f64 v[52:53], v[106:107], -v[110:111]
	v_add_f64 v[48:49], v[112:113], -v[108:109]
	v_mul_u32_u24_sdwa v104, v208, v118 dst_sel:DWORD dst_unused:UNUSED_PAD src0_sel:WORD_0 src1_sel:DWORD
	v_add_nc_u32_sdwa v104, v104, v209 dst_sel:DWORD dst_unused:UNUSED_PAD src0_sel:DWORD src1_sel:BYTE_0
	v_lshl_add_u32 v104, v104, 4, v207
	ds_write_b128 v104, v[44:47]
	ds_write_b128 v104, v[100:103] offset:176
	ds_write_b128 v104, v[64:67] offset:352
	;; [unrolled: 1-line block ×6, first 2 shown]
.LBB0_9:
	s_or_b32 exec_lo, exec_lo, s26
	s_waitcnt lgkmcnt(0)
	s_barrier
	buffer_gl0_inv
	ds_read_b128 v[48:51], v206 offset:1232
	ds_read_b128 v[44:47], v206
	ds_read_b128 v[52:55], v206 offset:2464
	ds_read_b128 v[56:59], v206 offset:3696
	;; [unrolled: 1-line block ×9, first 2 shown]
	s_mov_b32 s4, 0xf8bb580b
	s_mov_b32 s6, 0x8764f0ba
	;; [unrolled: 1-line block ×9, first 2 shown]
	s_waitcnt lgkmcnt(10)
	v_mul_f64 v[120:121], v[94:95], v[50:51]
	v_mul_f64 v[94:95], v[94:95], v[48:49]
	s_waitcnt lgkmcnt(8)
	v_mul_f64 v[132:133], v[78:79], v[54:55]
	v_mul_f64 v[78:79], v[78:79], v[52:53]
	;; [unrolled: 3-line block ×3, first 2 shown]
	s_mov_b32 s16, 0xd9c712b6
	s_waitcnt lgkmcnt(3)
	v_mul_f64 v[138:139], v[86:87], v[106:107]
	s_waitcnt lgkmcnt(2)
	v_mul_f64 v[134:135], v[90:91], v[110:111]
	v_mul_f64 v[90:91], v[90:91], v[108:109]
	s_waitcnt lgkmcnt(0)
	v_mul_f64 v[122:123], v[126:127], v[116:117]
	v_mul_f64 v[86:87], v[86:87], v[104:105]
	s_mov_b32 s22, 0xbb3a28a1
	s_mov_b32 s26, 0x7f775887
	;; [unrolled: 1-line block ×10, first 2 shown]
	v_fma_f64 v[120:121], v[92:93], v[48:49], v[120:121]
	v_fma_f64 v[92:93], v[92:93], v[50:51], -v[94:95]
	v_mul_f64 v[50:51], v[126:127], v[118:119]
	v_mul_f64 v[94:95], v[130:131], v[114:115]
	;; [unrolled: 1-line block ×5, first 2 shown]
	v_fma_f64 v[52:53], v[76:77], v[52:53], v[132:133]
	v_fma_f64 v[54:55], v[76:77], v[54:55], -v[78:79]
	v_fma_f64 v[60:61], v[68:69], v[60:61], v[136:137]
	v_fma_f64 v[48:49], v[124:125], v[118:119], -v[122:123]
	v_mul_f64 v[118:119], v[98:99], v[66:67]
	v_mul_f64 v[98:99], v[98:99], v[64:65]
	;; [unrolled: 1-line block ×4, first 2 shown]
	v_fma_f64 v[62:63], v[68:69], v[62:63], -v[70:71]
	v_fma_f64 v[68:69], v[84:85], v[104:105], v[138:139]
	v_fma_f64 v[70:71], v[84:85], v[106:107], -v[86:87]
	s_mov_b32 s35, 0xbfeeb42a
	s_mov_b32 s0, s4
	;; [unrolled: 1-line block ×4, first 2 shown]
	v_add_f64 v[76:77], v[44:45], v[120:121]
	v_add_f64 v[78:79], v[46:47], v[92:93]
	v_fma_f64 v[50:51], v[124:125], v[116:117], v[50:51]
	v_fma_f64 v[94:95], v[128:129], v[112:113], v[94:95]
	v_fma_f64 v[112:113], v[128:129], v[114:115], -v[126:127]
	v_fma_f64 v[56:57], v[72:73], v[56:57], v[130:131]
	v_fma_f64 v[58:59], v[72:73], v[58:59], -v[74:75]
	;; [unrolled: 2-line block ×3, first 2 shown]
	s_mov_b32 s36, s28
	v_add_f64 v[84:85], v[92:93], -v[48:49]
	v_add_f64 v[86:87], v[92:93], v[48:49]
	v_fma_f64 v[66:67], v[96:97], v[66:67], -v[98:99]
	v_fma_f64 v[88:89], v[80:81], v[100:101], v[122:123]
	v_fma_f64 v[80:81], v[80:81], v[102:103], -v[82:83]
	v_fma_f64 v[64:65], v[96:97], v[64:65], v[118:119]
	s_mov_b32 s15, 0x3fed1bb4
	s_mov_b32 s31, 0x3fe82f19
	;; [unrolled: 1-line block ×4, first 2 shown]
	v_add_f64 v[108:109], v[62:63], v[70:71]
	v_add_f64 v[110:111], v[62:63], -v[70:71]
	v_add_f64 v[76:77], v[76:77], v[52:53]
	v_add_f64 v[78:79], v[78:79], v[54:55]
	;; [unrolled: 1-line block ×3, first 2 shown]
	v_add_f64 v[90:91], v[120:121], -v[50:51]
	v_add_f64 v[96:97], v[54:55], -v[112:113]
	v_add_f64 v[54:55], v[54:55], v[112:113]
	v_add_f64 v[92:93], v[52:53], v[94:95]
	;; [unrolled: 1-line block ×3, first 2 shown]
	v_add_f64 v[102:103], v[56:57], -v[72:73]
	v_add_f64 v[100:101], v[58:59], v[74:75]
	v_add_f64 v[104:105], v[58:59], -v[74:75]
	v_mul_f64 v[114:115], v[84:85], s[4:5]
	v_mul_f64 v[116:117], v[86:87], s[6:7]
	v_add_f64 v[52:53], v[52:53], -v[94:95]
	v_mul_f64 v[118:119], v[84:85], s[12:13]
	v_mul_f64 v[120:121], v[86:87], s[16:17]
	;; [unrolled: 1-line block ×4, first 2 shown]
	v_add_f64 v[106:107], v[60:61], v[68:69]
	v_add_f64 v[56:57], v[76:77], v[56:57]
	;; [unrolled: 1-line block ×3, first 2 shown]
	v_mul_f64 v[76:77], v[84:85], s[18:19]
	v_mul_f64 v[78:79], v[86:87], s[20:21]
	;; [unrolled: 1-line block ×9, first 2 shown]
	v_fma_f64 v[156:157], v[82:83], s[6:7], v[114:115]
	v_fma_f64 v[158:159], v[90:91], s[0:1], v[116:117]
	v_mul_f64 v[132:133], v[54:55], s[26:27]
	v_mul_f64 v[138:139], v[96:97], s[24:25]
	;; [unrolled: 1-line block ×7, first 2 shown]
	v_fma_f64 v[114:115], v[82:83], s[6:7], -v[114:115]
	v_fma_f64 v[116:117], v[90:91], s[4:5], v[116:117]
	v_add_f64 v[56:57], v[56:57], v[60:61]
	v_add_f64 v[58:59], v[58:59], v[62:63]
	v_fma_f64 v[164:165], v[82:83], s[20:21], v[76:77]
	v_fma_f64 v[166:167], v[90:91], s[24:25], v[78:79]
	v_fma_f64 v[76:77], v[82:83], s[20:21], -v[76:77]
	v_fma_f64 v[78:79], v[90:91], s[18:19], v[78:79]
	v_fma_f64 v[160:161], v[82:83], s[16:17], v[118:119]
	v_fma_f64 v[162:163], v[90:91], s[14:15], v[120:121]
	v_fma_f64 v[118:119], v[82:83], s[16:17], -v[118:119]
	v_fma_f64 v[120:121], v[90:91], s[12:13], v[120:121]
	;; [unrolled: 4-line block ×4, first 2 shown]
	v_fma_f64 v[86:87], v[92:93], s[16:17], v[126:127]
	v_fma_f64 v[90:91], v[52:53], s[14:15], v[128:129]
	v_add_f64 v[156:157], v[44:45], v[156:157]
	v_add_f64 v[158:159], v[46:47], v[158:159]
	;; [unrolled: 1-line block ×4, first 2 shown]
	v_mul_f64 v[62:63], v[104:105], s[14:15]
	v_mul_f64 v[150:151], v[100:101], s[16:17]
	v_fma_f64 v[180:181], v[92:93], s[34:35], v[134:135]
	v_fma_f64 v[182:183], v[52:53], s[28:29], v[136:137]
	v_fma_f64 v[134:135], v[92:93], s[34:35], -v[134:135]
	v_fma_f64 v[136:137], v[52:53], s[36:37], v[136:137]
	v_add_f64 v[76:77], v[44:45], v[76:77]
	v_add_f64 v[78:79], v[46:47], v[78:79]
	v_mul_f64 v[152:153], v[104:105], s[4:5]
	v_fma_f64 v[126:127], v[92:93], s[16:17], -v[126:127]
	v_fma_f64 v[128:129], v[52:53], s[12:13], v[128:129]
	v_fma_f64 v[176:177], v[92:93], s[26:27], v[130:131]
	;; [unrolled: 1-line block ×3, first 2 shown]
	v_fma_f64 v[130:131], v[92:93], s[26:27], -v[130:131]
	v_fma_f64 v[132:133], v[52:53], s[22:23], v[132:133]
	v_fma_f64 v[184:185], v[92:93], s[20:21], v[138:139]
	v_fma_f64 v[186:187], v[52:53], s[18:19], v[140:141]
	v_fma_f64 v[138:139], v[92:93], s[20:21], -v[138:139]
	v_fma_f64 v[140:141], v[52:53], s[24:25], v[140:141]
	v_fma_f64 v[189:190], v[92:93], s[6:7], v[96:97]
	v_add_f64 v[56:57], v[56:57], v[88:89]
	v_add_f64 v[58:59], v[58:59], v[80:81]
	v_fma_f64 v[191:192], v[52:53], s[4:5], v[54:55]
	v_fma_f64 v[92:93], v[92:93], s[6:7], -v[96:97]
	v_fma_f64 v[52:53], v[52:53], s[0:1], v[54:55]
	v_fma_f64 v[54:55], v[98:99], s[20:21], v[142:143]
	;; [unrolled: 1-line block ×3, first 2 shown]
	v_add_f64 v[118:119], v[44:45], v[118:119]
	v_add_f64 v[120:121], v[46:47], v[120:121]
	;; [unrolled: 1-line block ×4, first 2 shown]
	v_mul_f64 v[146:147], v[104:105], s[36:37]
	v_mul_f64 v[148:149], v[100:101], s[34:35]
	;; [unrolled: 1-line block ×4, first 2 shown]
	v_fma_f64 v[197:198], v[98:99], s[16:17], v[62:63]
	v_fma_f64 v[199:200], v[102:103], s[12:13], v[150:151]
	v_fma_f64 v[62:63], v[98:99], s[16:17], -v[62:63]
	v_fma_f64 v[150:151], v[102:103], s[14:15], v[150:151]
	v_add_f64 v[76:77], v[134:135], v[76:77]
	v_add_f64 v[78:79], v[136:137], v[78:79]
	v_mul_f64 v[100:101], v[100:101], s[26:27]
	v_add_f64 v[56:57], v[56:57], v[68:69]
	v_add_f64 v[58:59], v[58:59], v[70:71]
	v_add_f64 v[70:71], v[44:45], v[114:115]
	v_add_f64 v[114:115], v[46:47], v[116:117]
	v_add_f64 v[116:117], v[44:45], v[160:161]
	v_add_f64 v[160:161], v[46:47], v[162:163]
	v_add_f64 v[162:163], v[44:45], v[164:165]
	v_add_f64 v[164:165], v[46:47], v[166:167]
	v_add_f64 v[166:167], v[44:45], v[168:169]
	v_add_f64 v[168:169], v[46:47], v[170:171]
	v_add_f64 v[170:171], v[44:45], v[172:173]
	v_add_f64 v[172:173], v[46:47], v[174:175]
	v_add_f64 v[44:45], v[44:45], v[82:83]
	v_add_f64 v[46:47], v[46:47], v[84:85]
	v_add_f64 v[82:83], v[86:87], v[156:157]
	v_add_f64 v[84:85], v[90:91], v[158:159]
	v_fma_f64 v[142:143], v[98:99], s[20:21], -v[142:143]
	v_add_f64 v[60:61], v[60:61], -v[68:69]
	v_mul_f64 v[68:69], v[110:111], s[22:23]
	v_fma_f64 v[144:145], v[102:103], s[18:19], v[144:145]
	v_fma_f64 v[193:194], v[98:99], s[34:35], v[146:147]
	;; [unrolled: 1-line block ×3, first 2 shown]
	v_add_f64 v[56:57], v[56:57], v[72:73]
	v_add_f64 v[58:59], v[58:59], v[74:75]
	;; [unrolled: 1-line block ×5, first 2 shown]
	v_fma_f64 v[146:147], v[98:99], s[34:35], -v[146:147]
	v_add_f64 v[74:75], v[176:177], v[116:117]
	v_add_f64 v[86:87], v[178:179], v[160:161]
	;; [unrolled: 1-line block ×5, first 2 shown]
	v_fma_f64 v[148:149], v[102:103], s[36:37], v[148:149]
	v_add_f64 v[44:45], v[92:93], v[44:45]
	v_add_f64 v[46:47], v[52:53], v[46:47]
	;; [unrolled: 1-line block ×4, first 2 shown]
	v_fma_f64 v[84:85], v[98:99], s[6:7], v[152:153]
	v_mul_f64 v[82:83], v[108:109], s[26:27]
	v_fma_f64 v[92:93], v[102:103], s[0:1], v[154:155]
	v_mul_f64 v[96:97], v[108:109], s[20:21]
	v_add_f64 v[122:123], v[138:139], v[122:123]
	v_add_f64 v[124:125], v[140:141], v[124:125]
	;; [unrolled: 1-line block ×3, first 2 shown]
	v_mul_f64 v[94:95], v[110:111], s[24:25]
	v_add_f64 v[58:59], v[58:59], v[112:113]
	v_fma_f64 v[112:113], v[98:99], s[6:7], -v[152:153]
	v_fma_f64 v[132:133], v[102:103], s[4:5], v[154:155]
	v_add_f64 v[62:63], v[62:63], v[76:77]
	v_add_f64 v[76:77], v[150:151], v[78:79]
	v_fma_f64 v[78:79], v[98:99], s[26:27], -v[104:105]
	v_add_f64 v[116:117], v[180:181], v[162:163]
	v_fma_f64 v[134:135], v[98:99], s[26:27], v[104:105]
	v_mul_f64 v[104:105], v[110:111], s[4:5]
	v_add_f64 v[118:119], v[182:183], v[164:165]
	v_add_f64 v[70:71], v[142:143], v[70:71]
	v_fma_f64 v[136:137], v[102:103], s[30:31], v[100:101]
	v_fma_f64 v[98:99], v[102:103], s[22:23], v[100:101]
	;; [unrolled: 1-line block ×3, first 2 shown]
	v_add_f64 v[84:85], v[84:85], v[120:121]
	v_fma_f64 v[68:69], v[106:107], s[26:27], -v[68:69]
	v_mul_f64 v[120:121], v[108:109], s[6:7]
	v_add_f64 v[72:73], v[144:145], v[72:73]
	v_fma_f64 v[102:103], v[60:61], s[30:31], v[82:83]
	v_fma_f64 v[82:83], v[60:61], s[22:23], v[82:83]
	v_add_f64 v[74:75], v[193:194], v[74:75]
	v_add_f64 v[86:87], v[195:196], v[86:87]
	;; [unrolled: 1-line block ×4, first 2 shown]
	v_fma_f64 v[126:127], v[106:107], s[20:21], v[94:95]
	v_fma_f64 v[138:139], v[60:61], s[18:19], v[96:97]
	v_fma_f64 v[94:95], v[106:107], s[20:21], -v[94:95]
	v_add_f64 v[114:115], v[148:149], v[114:115]
	v_add_f64 v[112:113], v[112:113], v[122:123]
	v_fma_f64 v[96:97], v[60:61], s[24:25], v[96:97]
	v_add_f64 v[122:123], v[132:133], v[124:125]
	v_mul_f64 v[124:125], v[110:111], s[28:29]
	v_mul_f64 v[132:133], v[108:109], s[34:35]
	;; [unrolled: 1-line block ×4, first 2 shown]
	v_add_f64 v[44:45], v[78:79], v[44:45]
	v_add_f64 v[78:79], v[66:67], -v[80:81]
	v_add_f64 v[66:67], v[66:67], v[80:81]
	v_add_f64 v[128:129], v[189:190], v[170:171]
	;; [unrolled: 1-line block ×4, first 2 shown]
	v_fma_f64 v[80:81], v[106:107], s[6:7], v[104:105]
	v_add_f64 v[118:119], v[199:200], v[118:119]
	v_add_f64 v[68:69], v[68:69], v[70:71]
	v_fma_f64 v[70:71], v[60:61], s[0:1], v[120:121]
	v_add_f64 v[46:47], v[98:99], v[46:47]
	v_add_f64 v[98:99], v[82:83], v[72:73]
	v_fma_f64 v[82:83], v[106:107], s[6:7], -v[104:105]
	v_add_f64 v[72:73], v[126:127], v[74:75]
	v_add_f64 v[74:75], v[138:139], v[86:87]
	;; [unrolled: 1-line block ×3, first 2 shown]
	v_fma_f64 v[94:95], v[60:61], s[4:5], v[120:121]
	v_add_f64 v[52:53], v[100:101], v[52:53]
	v_add_f64 v[54:55], v[102:103], v[54:55]
	;; [unrolled: 1-line block ×3, first 2 shown]
	v_fma_f64 v[96:97], v[106:107], s[34:35], v[124:125]
	v_fma_f64 v[100:101], v[60:61], s[36:37], v[132:133]
	v_fma_f64 v[102:103], v[106:107], s[34:35], -v[124:125]
	v_fma_f64 v[104:105], v[60:61], s[28:29], v[132:133]
	v_fma_f64 v[114:115], v[106:107], s[16:17], v[110:111]
	;; [unrolled: 1-line block ×3, first 2 shown]
	v_fma_f64 v[106:107], v[106:107], s[16:17], -v[110:111]
	v_fma_f64 v[60:61], v[60:61], s[14:15], v[108:109]
	v_add_f64 v[108:109], v[64:65], v[88:89]
	v_add_f64 v[64:65], v[64:65], -v[88:89]
	v_mul_f64 v[88:89], v[78:79], s[28:29]
	v_mul_f64 v[110:111], v[66:67], s[34:35]
	v_add_f64 v[128:129], v[134:135], v[128:129]
	v_add_f64 v[130:131], v[136:137], v[130:131]
	;; [unrolled: 1-line block ×3, first 2 shown]
	v_mul_f64 v[116:117], v[78:79], s[0:1]
	v_mul_f64 v[124:125], v[66:67], s[6:7]
	v_add_f64 v[70:71], v[70:71], v[118:119]
	v_mul_f64 v[118:119], v[78:79], s[22:23]
	v_mul_f64 v[126:127], v[66:67], s[26:27]
	v_add_f64 v[62:63], v[82:83], v[62:63]
	;; [unrolled: 3-line block ×4, first 2 shown]
	v_add_f64 v[84:85], v[100:101], v[92:93]
	v_add_f64 v[92:93], v[102:103], v[112:113]
	v_add_f64 v[96:97], v[104:105], v[122:123]
	v_add_f64 v[104:105], v[106:107], v[44:45]
	v_add_f64 v[106:107], v[60:61], v[46:47]
	v_fma_f64 v[60:61], v[108:109], s[34:35], v[88:89]
	v_fma_f64 v[112:113], v[64:65], s[36:37], v[110:111]
	v_add_f64 v[100:101], v[114:115], v[128:129]
	v_add_f64 v[102:103], v[120:121], v[130:131]
	v_fma_f64 v[88:89], v[108:109], s[34:35], -v[88:89]
	v_fma_f64 v[114:115], v[108:109], s[6:7], v[116:117]
	v_fma_f64 v[120:121], v[64:65], s[4:5], v[124:125]
	v_fma_f64 v[116:117], v[108:109], s[6:7], -v[116:117]
	v_fma_f64 v[122:123], v[108:109], s[26:27], v[118:119]
	v_fma_f64 v[128:129], v[64:65], s[30:31], v[126:127]
	;; [unrolled: 3-line block ×5, first 2 shown]
	v_fma_f64 v[126:127], v[64:65], s[22:23], v[126:127]
	v_fma_f64 v[124:125], v[64:65], s[0:1], v[124:125]
	;; [unrolled: 1-line block ×3, first 2 shown]
	v_add_f64 v[44:45], v[56:57], v[50:51]
	v_add_f64 v[46:47], v[58:59], v[48:49]
	;; [unrolled: 1-line block ×22, first 2 shown]
	ds_write_b128 v206, v[44:47]
	ds_write_b128 v206, v[48:51] offset:1232
	ds_write_b128 v206, v[56:59] offset:2464
	;; [unrolled: 1-line block ×10, first 2 shown]
	s_waitcnt lgkmcnt(0)
	s_barrier
	buffer_gl0_inv
	ds_read_b128 v[44:47], v206
	ds_read_b128 v[48:51], v206 offset:1232
	v_mad_u64_u32 v[56:57], null, s10, v188, 0
	v_mad_u64_u32 v[58:59], null, s8, v205, 0
	s_mov_b32 s0, 0xe9078e5b
	s_mov_b32 s1, 0x3f5357f3
	s_waitcnt lgkmcnt(1)
	v_mul_f64 v[52:53], v[6:7], v[46:47]
	v_mul_f64 v[6:7], v[6:7], v[44:45]
	s_waitcnt lgkmcnt(0)
	v_mul_f64 v[60:61], v[2:3], v[50:51]
	v_mul_f64 v[2:3], v[2:3], v[48:49]
	v_fma_f64 v[44:45], v[4:5], v[44:45], v[52:53]
	v_fma_f64 v[46:47], v[4:5], v[46:47], -v[6:7]
	ds_read_b128 v[4:7], v206 offset:2464
	v_mov_b32_e32 v52, v57
	v_fma_f64 v[48:49], v[0:1], v[48:49], v[60:61]
	v_fma_f64 v[50:51], v[0:1], v[50:51], -v[2:3]
	ds_read_b128 v[0:3], v206 offset:4928
	v_mad_u64_u32 v[52:53], null, s11, v188, v[52:53]
	v_mov_b32_e32 v53, v59
	v_mad_u64_u32 v[62:63], null, s9, v205, v[53:54]
	v_mov_b32_e32 v57, v52
	ds_read_b128 v[52:55], v206 offset:3696
	s_waitcnt lgkmcnt(2)
	v_mul_f64 v[63:64], v[42:43], v[6:7]
	v_mul_f64 v[42:43], v[42:43], v[4:5]
	;; [unrolled: 1-line block ×4, first 2 shown]
	v_mov_b32_e32 v59, v62
	v_lshlrev_b64 v[56:57], 4, v[56:57]
	v_lshlrev_b64 v[58:59], 4, v[58:59]
	v_add_co_u32 v56, vcc_lo, s2, v56
	v_add_co_ci_u32_e32 v57, vcc_lo, s3, v57, vcc_lo
	s_mul_i32 s2, s9, 0x4d0
	v_add_co_u32 v60, vcc_lo, v56, v58
	v_add_co_ci_u32_e32 v61, vcc_lo, v57, v59, vcc_lo
	s_mul_hi_u32 s3, s8, 0x4d0
	s_waitcnt lgkmcnt(0)
	v_mul_f64 v[72:73], v[22:23], v[54:55]
	v_mul_f64 v[22:23], v[22:23], v[52:53]
	v_fma_f64 v[64:65], v[40:41], v[4:5], v[63:64]
	v_fma_f64 v[66:67], v[40:41], v[6:7], -v[42:43]
	ds_read_b128 v[40:43], v206 offset:6160
	s_add_i32 s3, s3, s2
	s_mul_i32 s2, s8, 0x4d0
	v_mul_f64 v[74:75], v[26:27], v[2:3]
	v_mul_f64 v[26:27], v[26:27], v[0:1]
	global_store_dwordx4 v[60:61], v[44:47], off
	ds_read_b128 v[44:47], v206 offset:7392
	v_add_co_u32 v76, vcc_lo, v60, s2
	v_mul_f64 v[4:5], v[48:49], s[0:1]
	v_mul_f64 v[6:7], v[50:51], s[0:1]
	ds_read_b128 v[48:51], v206 offset:8624
	ds_read_b128 v[56:59], v206 offset:9856
	v_add_co_ci_u32_e32 v77, vcc_lo, s3, v61, vcc_lo
	ds_read_b128 v[60:63], v206 offset:11088
	ds_read_b128 v[68:71], v206 offset:12320
	v_fma_f64 v[52:53], v[20:21], v[52:53], v[72:73]
	v_fma_f64 v[20:21], v[20:21], v[54:55], -v[22:23]
	s_waitcnt lgkmcnt(5)
	v_mul_f64 v[22:23], v[14:15], v[42:43]
	v_mul_f64 v[14:15], v[14:15], v[40:41]
	;; [unrolled: 1-line block ×4, first 2 shown]
	v_add_co_u32 v54, vcc_lo, v76, s2
	s_waitcnt lgkmcnt(4)
	v_mul_f64 v[72:73], v[10:11], v[46:47]
	v_mul_f64 v[10:11], v[10:11], v[44:45]
	v_fma_f64 v[74:75], v[24:25], v[0:1], v[74:75]
	v_fma_f64 v[24:25], v[24:25], v[2:3], -v[26:27]
	s_waitcnt lgkmcnt(3)
	v_mul_f64 v[26:27], v[18:19], v[50:51]
	v_mul_f64 v[18:19], v[18:19], v[48:49]
	s_waitcnt lgkmcnt(2)
	v_mul_f64 v[78:79], v[30:31], v[58:59]
	v_mul_f64 v[30:31], v[30:31], v[56:57]
	;; [unrolled: 3-line block ×4, first 2 shown]
	v_add_co_ci_u32_e32 v55, vcc_lo, s3, v77, vcc_lo
	global_store_dwordx4 v[76:77], v[4:7], off
	global_store_dwordx4 v[54:55], v[64:67], off
	v_mul_f64 v[2:3], v[20:21], s[0:1]
	v_fma_f64 v[20:21], v[12:13], v[40:41], v[22:23]
	v_fma_f64 v[12:13], v[12:13], v[42:43], -v[14:15]
	v_fma_f64 v[14:15], v[8:9], v[44:45], v[72:73]
	v_fma_f64 v[22:23], v[8:9], v[46:47], -v[10:11]
	v_add_co_u32 v40, vcc_lo, v54, s2
	v_mul_f64 v[6:7], v[24:25], s[0:1]
	v_fma_f64 v[24:25], v[16:17], v[48:49], v[26:27]
	v_fma_f64 v[18:19], v[16:17], v[50:51], -v[18:19]
	v_fma_f64 v[26:27], v[28:29], v[56:57], v[78:79]
	v_fma_f64 v[28:29], v[28:29], v[58:59], -v[30:31]
	;; [unrolled: 2-line block ×4, first 2 shown]
	v_add_co_ci_u32_e32 v41, vcc_lo, s3, v55, vcc_lo
	v_mul_f64 v[0:1], v[52:53], s[0:1]
	v_add_co_u32 v38, vcc_lo, v40, s2
	v_add_co_ci_u32_e32 v39, vcc_lo, s3, v41, vcc_lo
	v_mul_f64 v[4:5], v[74:75], s[0:1]
	v_add_co_u32 v42, vcc_lo, v38, s2
	;; [unrolled: 3-line block ×3, first 2 shown]
	v_mul_f64 v[10:11], v[12:13], s[0:1]
	v_mul_f64 v[12:13], v[14:15], s[0:1]
	;; [unrolled: 1-line block ×3, first 2 shown]
	v_add_co_ci_u32_e32 v45, vcc_lo, s3, v43, vcc_lo
	v_mul_f64 v[16:17], v[24:25], s[0:1]
	v_mul_f64 v[18:19], v[18:19], s[0:1]
	;; [unrolled: 1-line block ×8, first 2 shown]
	v_add_co_u32 v32, vcc_lo, v44, s2
	v_add_co_ci_u32_e32 v33, vcc_lo, s3, v45, vcc_lo
	global_store_dwordx4 v[40:41], v[0:3], off
	v_add_co_u32 v0, vcc_lo, v32, s2
	v_add_co_ci_u32_e32 v1, vcc_lo, s3, v33, vcc_lo
	global_store_dwordx4 v[38:39], v[4:7], off
	;; [unrolled: 3-line block ×4, first 2 shown]
	global_store_dwordx4 v[32:33], v[16:19], off
	global_store_dwordx4 v[0:1], v[20:23], off
	;; [unrolled: 1-line block ×4, first 2 shown]
.LBB0_10:
	s_endpgm
	.section	.rodata,"a",@progbits
	.p2align	6, 0x0
	.amdhsa_kernel bluestein_single_back_len847_dim1_dp_op_CI_CI
		.amdhsa_group_segment_fixed_size 40656
		.amdhsa_private_segment_fixed_size 0
		.amdhsa_kernarg_size 104
		.amdhsa_user_sgpr_count 6
		.amdhsa_user_sgpr_private_segment_buffer 1
		.amdhsa_user_sgpr_dispatch_ptr 0
		.amdhsa_user_sgpr_queue_ptr 0
		.amdhsa_user_sgpr_kernarg_segment_ptr 1
		.amdhsa_user_sgpr_dispatch_id 0
		.amdhsa_user_sgpr_flat_scratch_init 0
		.amdhsa_user_sgpr_private_segment_size 0
		.amdhsa_wavefront_size32 1
		.amdhsa_uses_dynamic_stack 0
		.amdhsa_system_sgpr_private_segment_wavefront_offset 0
		.amdhsa_system_sgpr_workgroup_id_x 1
		.amdhsa_system_sgpr_workgroup_id_y 0
		.amdhsa_system_sgpr_workgroup_id_z 0
		.amdhsa_system_sgpr_workgroup_info 0
		.amdhsa_system_vgpr_workitem_id 0
		.amdhsa_next_free_vgpr 240
		.amdhsa_next_free_sgpr 38
		.amdhsa_reserve_vcc 1
		.amdhsa_reserve_flat_scratch 0
		.amdhsa_float_round_mode_32 0
		.amdhsa_float_round_mode_16_64 0
		.amdhsa_float_denorm_mode_32 3
		.amdhsa_float_denorm_mode_16_64 3
		.amdhsa_dx10_clamp 1
		.amdhsa_ieee_mode 1
		.amdhsa_fp16_overflow 0
		.amdhsa_workgroup_processor_mode 1
		.amdhsa_memory_ordered 1
		.amdhsa_forward_progress 0
		.amdhsa_shared_vgpr_count 0
		.amdhsa_exception_fp_ieee_invalid_op 0
		.amdhsa_exception_fp_denorm_src 0
		.amdhsa_exception_fp_ieee_div_zero 0
		.amdhsa_exception_fp_ieee_overflow 0
		.amdhsa_exception_fp_ieee_underflow 0
		.amdhsa_exception_fp_ieee_inexact 0
		.amdhsa_exception_int_div_zero 0
	.end_amdhsa_kernel
	.text
.Lfunc_end0:
	.size	bluestein_single_back_len847_dim1_dp_op_CI_CI, .Lfunc_end0-bluestein_single_back_len847_dim1_dp_op_CI_CI
                                        ; -- End function
	.section	.AMDGPU.csdata,"",@progbits
; Kernel info:
; codeLenInByte = 19224
; NumSgprs: 40
; NumVgprs: 240
; ScratchSize: 0
; MemoryBound: 0
; FloatMode: 240
; IeeeMode: 1
; LDSByteSize: 40656 bytes/workgroup (compile time only)
; SGPRBlocks: 4
; VGPRBlocks: 29
; NumSGPRsForWavesPerEU: 40
; NumVGPRsForWavesPerEU: 240
; Occupancy: 4
; WaveLimiterHint : 1
; COMPUTE_PGM_RSRC2:SCRATCH_EN: 0
; COMPUTE_PGM_RSRC2:USER_SGPR: 6
; COMPUTE_PGM_RSRC2:TRAP_HANDLER: 0
; COMPUTE_PGM_RSRC2:TGID_X_EN: 1
; COMPUTE_PGM_RSRC2:TGID_Y_EN: 0
; COMPUTE_PGM_RSRC2:TGID_Z_EN: 0
; COMPUTE_PGM_RSRC2:TIDIG_COMP_CNT: 0
	.text
	.p2alignl 6, 3214868480
	.fill 48, 4, 3214868480
	.type	__hip_cuid_76574ca428e46ff,@object ; @__hip_cuid_76574ca428e46ff
	.section	.bss,"aw",@nobits
	.globl	__hip_cuid_76574ca428e46ff
__hip_cuid_76574ca428e46ff:
	.byte	0                               ; 0x0
	.size	__hip_cuid_76574ca428e46ff, 1

	.ident	"AMD clang version 19.0.0git (https://github.com/RadeonOpenCompute/llvm-project roc-6.4.0 25133 c7fe45cf4b819c5991fe208aaa96edf142730f1d)"
	.section	".note.GNU-stack","",@progbits
	.addrsig
	.addrsig_sym __hip_cuid_76574ca428e46ff
	.amdgpu_metadata
---
amdhsa.kernels:
  - .args:
      - .actual_access:  read_only
        .address_space:  global
        .offset:         0
        .size:           8
        .value_kind:     global_buffer
      - .actual_access:  read_only
        .address_space:  global
        .offset:         8
        .size:           8
        .value_kind:     global_buffer
      - .actual_access:  read_only
        .address_space:  global
        .offset:         16
        .size:           8
        .value_kind:     global_buffer
      - .actual_access:  read_only
        .address_space:  global
        .offset:         24
        .size:           8
        .value_kind:     global_buffer
      - .actual_access:  read_only
        .address_space:  global
        .offset:         32
        .size:           8
        .value_kind:     global_buffer
      - .offset:         40
        .size:           8
        .value_kind:     by_value
      - .address_space:  global
        .offset:         48
        .size:           8
        .value_kind:     global_buffer
      - .address_space:  global
        .offset:         56
        .size:           8
        .value_kind:     global_buffer
      - .address_space:  global
        .offset:         64
        .size:           8
        .value_kind:     global_buffer
      - .address_space:  global
        .offset:         72
        .size:           8
        .value_kind:     global_buffer
      - .offset:         80
        .size:           4
        .value_kind:     by_value
      - .address_space:  global
        .offset:         88
        .size:           8
        .value_kind:     global_buffer
      - .address_space:  global
        .offset:         96
        .size:           8
        .value_kind:     global_buffer
    .group_segment_fixed_size: 40656
    .kernarg_segment_align: 8
    .kernarg_segment_size: 104
    .language:       OpenCL C
    .language_version:
      - 2
      - 0
    .max_flat_workgroup_size: 231
    .name:           bluestein_single_back_len847_dim1_dp_op_CI_CI
    .private_segment_fixed_size: 0
    .sgpr_count:     40
    .sgpr_spill_count: 0
    .symbol:         bluestein_single_back_len847_dim1_dp_op_CI_CI.kd
    .uniform_work_group_size: 1
    .uses_dynamic_stack: false
    .vgpr_count:     240
    .vgpr_spill_count: 0
    .wavefront_size: 32
    .workgroup_processor_mode: 1
amdhsa.target:   amdgcn-amd-amdhsa--gfx1030
amdhsa.version:
  - 1
  - 2
...

	.end_amdgpu_metadata
